;; amdgpu-corpus repo=ROCm/rocFFT kind=compiled arch=gfx1201 opt=O3
	.text
	.amdgcn_target "amdgcn-amd-amdhsa--gfx1201"
	.amdhsa_code_object_version 6
	.protected	fft_rtc_back_len1600_factors_10_16_10_wgs_200_tpt_100_halfLds_dp_ip_CI_unitstride_sbrr_C2R_dirReg ; -- Begin function fft_rtc_back_len1600_factors_10_16_10_wgs_200_tpt_100_halfLds_dp_ip_CI_unitstride_sbrr_C2R_dirReg
	.globl	fft_rtc_back_len1600_factors_10_16_10_wgs_200_tpt_100_halfLds_dp_ip_CI_unitstride_sbrr_C2R_dirReg
	.p2align	8
	.type	fft_rtc_back_len1600_factors_10_16_10_wgs_200_tpt_100_halfLds_dp_ip_CI_unitstride_sbrr_C2R_dirReg,@function
fft_rtc_back_len1600_factors_10_16_10_wgs_200_tpt_100_halfLds_dp_ip_CI_unitstride_sbrr_C2R_dirReg: ; @fft_rtc_back_len1600_factors_10_16_10_wgs_200_tpt_100_halfLds_dp_ip_CI_unitstride_sbrr_C2R_dirReg
; %bb.0:
	s_clause 0x2
	s_load_b128 s[4:7], s[0:1], 0x0
	s_load_b64 s[8:9], s[0:1], 0x50
	s_load_b64 s[10:11], s[0:1], 0x18
	v_mul_u32_u24_e32 v1, 0x290, v0
	v_mov_b32_e32 v3, 0
	s_delay_alu instid0(VALU_DEP_2) | instskip(SKIP_2) | instid1(VALU_DEP_4)
	v_lshrrev_b32_e32 v9, 16, v1
	v_mov_b32_e32 v1, 0
	v_mov_b32_e32 v2, 0
	;; [unrolled: 1-line block ×3, first 2 shown]
	s_delay_alu instid0(VALU_DEP_4) | instskip(SKIP_2) | instid1(VALU_DEP_1)
	v_lshl_add_u32 v5, ttmp9, 1, v9
	s_wait_kmcnt 0x0
	v_cmp_lt_u64_e64 s2, s[6:7], 2
	s_and_b32 vcc_lo, exec_lo, s2
	s_cbranch_vccnz .LBB0_8
; %bb.1:
	s_load_b64 s[2:3], s[0:1], 0x10
	v_mov_b32_e32 v1, 0
	v_mov_b32_e32 v2, 0
	s_add_nc_u64 s[12:13], s[10:11], 8
	s_mov_b64 s[14:15], 1
	s_wait_kmcnt 0x0
	s_add_nc_u64 s[16:17], s[2:3], 8
	s_mov_b32 s3, 0
.LBB0_2:                                ; =>This Inner Loop Header: Depth=1
	s_load_b64 s[18:19], s[16:17], 0x0
                                        ; implicit-def: $vgpr7_vgpr8
	s_mov_b32 s2, exec_lo
	s_wait_kmcnt 0x0
	v_or_b32_e32 v4, s19, v6
	s_delay_alu instid0(VALU_DEP_1)
	v_cmpx_ne_u64_e32 0, v[3:4]
	s_wait_alu 0xfffe
	s_xor_b32 s20, exec_lo, s2
	s_cbranch_execz .LBB0_4
; %bb.3:                                ;   in Loop: Header=BB0_2 Depth=1
	s_cvt_f32_u32 s2, s18
	s_cvt_f32_u32 s21, s19
	s_sub_nc_u64 s[24:25], 0, s[18:19]
	s_wait_alu 0xfffe
	s_delay_alu instid0(SALU_CYCLE_1) | instskip(SKIP_1) | instid1(SALU_CYCLE_2)
	s_fmamk_f32 s2, s21, 0x4f800000, s2
	s_wait_alu 0xfffe
	v_s_rcp_f32 s2, s2
	s_delay_alu instid0(TRANS32_DEP_1) | instskip(SKIP_1) | instid1(SALU_CYCLE_2)
	s_mul_f32 s2, s2, 0x5f7ffffc
	s_wait_alu 0xfffe
	s_mul_f32 s21, s2, 0x2f800000
	s_wait_alu 0xfffe
	s_delay_alu instid0(SALU_CYCLE_2) | instskip(SKIP_1) | instid1(SALU_CYCLE_2)
	s_trunc_f32 s21, s21
	s_wait_alu 0xfffe
	s_fmamk_f32 s2, s21, 0xcf800000, s2
	s_cvt_u32_f32 s23, s21
	s_wait_alu 0xfffe
	s_delay_alu instid0(SALU_CYCLE_1) | instskip(SKIP_1) | instid1(SALU_CYCLE_2)
	s_cvt_u32_f32 s22, s2
	s_wait_alu 0xfffe
	s_mul_u64 s[26:27], s[24:25], s[22:23]
	s_wait_alu 0xfffe
	s_mul_hi_u32 s29, s22, s27
	s_mul_i32 s28, s22, s27
	s_mul_hi_u32 s2, s22, s26
	s_mul_i32 s30, s23, s26
	s_wait_alu 0xfffe
	s_add_nc_u64 s[28:29], s[2:3], s[28:29]
	s_mul_hi_u32 s21, s23, s26
	s_mul_hi_u32 s31, s23, s27
	s_add_co_u32 s2, s28, s30
	s_wait_alu 0xfffe
	s_add_co_ci_u32 s2, s29, s21
	s_mul_i32 s26, s23, s27
	s_add_co_ci_u32 s27, s31, 0
	s_wait_alu 0xfffe
	s_add_nc_u64 s[26:27], s[2:3], s[26:27]
	s_wait_alu 0xfffe
	v_add_co_u32 v4, s2, s22, s26
	s_delay_alu instid0(VALU_DEP_1) | instskip(SKIP_1) | instid1(VALU_DEP_1)
	s_cmp_lg_u32 s2, 0
	s_add_co_ci_u32 s23, s23, s27
	v_readfirstlane_b32 s22, v4
	s_wait_alu 0xfffe
	s_delay_alu instid0(VALU_DEP_1)
	s_mul_u64 s[24:25], s[24:25], s[22:23]
	s_wait_alu 0xfffe
	s_mul_hi_u32 s27, s22, s25
	s_mul_i32 s26, s22, s25
	s_mul_hi_u32 s2, s22, s24
	s_mul_i32 s28, s23, s24
	s_wait_alu 0xfffe
	s_add_nc_u64 s[26:27], s[2:3], s[26:27]
	s_mul_hi_u32 s21, s23, s24
	s_mul_hi_u32 s22, s23, s25
	s_wait_alu 0xfffe
	s_add_co_u32 s2, s26, s28
	s_add_co_ci_u32 s2, s27, s21
	s_mul_i32 s24, s23, s25
	s_add_co_ci_u32 s25, s22, 0
	s_wait_alu 0xfffe
	s_add_nc_u64 s[24:25], s[2:3], s[24:25]
	s_wait_alu 0xfffe
	v_add_co_u32 v4, s2, v4, s24
	s_delay_alu instid0(VALU_DEP_1) | instskip(SKIP_1) | instid1(VALU_DEP_1)
	s_cmp_lg_u32 s2, 0
	s_add_co_ci_u32 s2, s23, s25
	v_mul_hi_u32 v14, v5, v4
	s_wait_alu 0xfffe
	v_mad_co_u64_u32 v[7:8], null, v5, s2, 0
	v_mad_co_u64_u32 v[10:11], null, v6, v4, 0
	;; [unrolled: 1-line block ×3, first 2 shown]
	s_delay_alu instid0(VALU_DEP_3) | instskip(SKIP_1) | instid1(VALU_DEP_4)
	v_add_co_u32 v4, vcc_lo, v14, v7
	s_wait_alu 0xfffd
	v_add_co_ci_u32_e32 v7, vcc_lo, 0, v8, vcc_lo
	s_delay_alu instid0(VALU_DEP_2) | instskip(SKIP_1) | instid1(VALU_DEP_2)
	v_add_co_u32 v4, vcc_lo, v4, v10
	s_wait_alu 0xfffd
	v_add_co_ci_u32_e32 v4, vcc_lo, v7, v11, vcc_lo
	s_wait_alu 0xfffd
	v_add_co_ci_u32_e32 v7, vcc_lo, 0, v13, vcc_lo
	s_delay_alu instid0(VALU_DEP_2) | instskip(SKIP_1) | instid1(VALU_DEP_2)
	v_add_co_u32 v4, vcc_lo, v4, v12
	s_wait_alu 0xfffd
	v_add_co_ci_u32_e32 v10, vcc_lo, 0, v7, vcc_lo
	s_delay_alu instid0(VALU_DEP_2) | instskip(SKIP_1) | instid1(VALU_DEP_3)
	v_mul_lo_u32 v11, s19, v4
	v_mad_co_u64_u32 v[7:8], null, s18, v4, 0
	v_mul_lo_u32 v12, s18, v10
	s_delay_alu instid0(VALU_DEP_2) | instskip(NEXT) | instid1(VALU_DEP_2)
	v_sub_co_u32 v7, vcc_lo, v5, v7
	v_add3_u32 v8, v8, v12, v11
	s_delay_alu instid0(VALU_DEP_1) | instskip(SKIP_1) | instid1(VALU_DEP_1)
	v_sub_nc_u32_e32 v11, v6, v8
	s_wait_alu 0xfffd
	v_subrev_co_ci_u32_e64 v11, s2, s19, v11, vcc_lo
	v_add_co_u32 v12, s2, v4, 2
	s_wait_alu 0xf1ff
	v_add_co_ci_u32_e64 v13, s2, 0, v10, s2
	v_sub_co_u32 v14, s2, v7, s18
	v_sub_co_ci_u32_e32 v8, vcc_lo, v6, v8, vcc_lo
	s_wait_alu 0xf1ff
	v_subrev_co_ci_u32_e64 v11, s2, 0, v11, s2
	s_delay_alu instid0(VALU_DEP_3) | instskip(NEXT) | instid1(VALU_DEP_3)
	v_cmp_le_u32_e32 vcc_lo, s18, v14
	v_cmp_eq_u32_e64 s2, s19, v8
	s_wait_alu 0xfffd
	v_cndmask_b32_e64 v14, 0, -1, vcc_lo
	v_cmp_le_u32_e32 vcc_lo, s19, v11
	s_wait_alu 0xfffd
	v_cndmask_b32_e64 v15, 0, -1, vcc_lo
	v_cmp_le_u32_e32 vcc_lo, s18, v7
	;; [unrolled: 3-line block ×3, first 2 shown]
	s_wait_alu 0xfffd
	v_cndmask_b32_e64 v16, 0, -1, vcc_lo
	v_cmp_eq_u32_e32 vcc_lo, s19, v11
	s_wait_alu 0xf1ff
	s_delay_alu instid0(VALU_DEP_2)
	v_cndmask_b32_e64 v7, v16, v7, s2
	s_wait_alu 0xfffd
	v_cndmask_b32_e32 v11, v15, v14, vcc_lo
	v_add_co_u32 v14, vcc_lo, v4, 1
	s_wait_alu 0xfffd
	v_add_co_ci_u32_e32 v15, vcc_lo, 0, v10, vcc_lo
	s_delay_alu instid0(VALU_DEP_3) | instskip(SKIP_1) | instid1(VALU_DEP_2)
	v_cmp_ne_u32_e32 vcc_lo, 0, v11
	s_wait_alu 0xfffd
	v_dual_cndmask_b32 v8, v15, v13 :: v_dual_cndmask_b32 v11, v14, v12
	v_cmp_ne_u32_e32 vcc_lo, 0, v7
	s_wait_alu 0xfffd
	s_delay_alu instid0(VALU_DEP_2)
	v_dual_cndmask_b32 v8, v10, v8 :: v_dual_cndmask_b32 v7, v4, v11
.LBB0_4:                                ;   in Loop: Header=BB0_2 Depth=1
	s_wait_alu 0xfffe
	s_and_not1_saveexec_b32 s2, s20
	s_cbranch_execz .LBB0_6
; %bb.5:                                ;   in Loop: Header=BB0_2 Depth=1
	v_cvt_f32_u32_e32 v4, s18
	s_sub_co_i32 s20, 0, s18
	s_delay_alu instid0(VALU_DEP_1) | instskip(NEXT) | instid1(TRANS32_DEP_1)
	v_rcp_iflag_f32_e32 v4, v4
	v_mul_f32_e32 v4, 0x4f7ffffe, v4
	s_delay_alu instid0(VALU_DEP_1) | instskip(SKIP_1) | instid1(VALU_DEP_1)
	v_cvt_u32_f32_e32 v4, v4
	s_wait_alu 0xfffe
	v_mul_lo_u32 v7, s20, v4
	s_delay_alu instid0(VALU_DEP_1) | instskip(NEXT) | instid1(VALU_DEP_1)
	v_mul_hi_u32 v7, v4, v7
	v_add_nc_u32_e32 v4, v4, v7
	s_delay_alu instid0(VALU_DEP_1) | instskip(NEXT) | instid1(VALU_DEP_1)
	v_mul_hi_u32 v4, v5, v4
	v_mul_lo_u32 v7, v4, s18
	v_add_nc_u32_e32 v8, 1, v4
	s_delay_alu instid0(VALU_DEP_2) | instskip(NEXT) | instid1(VALU_DEP_1)
	v_sub_nc_u32_e32 v7, v5, v7
	v_subrev_nc_u32_e32 v10, s18, v7
	v_cmp_le_u32_e32 vcc_lo, s18, v7
	s_wait_alu 0xfffd
	s_delay_alu instid0(VALU_DEP_2) | instskip(NEXT) | instid1(VALU_DEP_1)
	v_dual_cndmask_b32 v7, v7, v10 :: v_dual_cndmask_b32 v4, v4, v8
	v_cmp_le_u32_e32 vcc_lo, s18, v7
	s_delay_alu instid0(VALU_DEP_2) | instskip(SKIP_1) | instid1(VALU_DEP_1)
	v_add_nc_u32_e32 v8, 1, v4
	s_wait_alu 0xfffd
	v_dual_cndmask_b32 v7, v4, v8 :: v_dual_mov_b32 v8, v3
.LBB0_6:                                ;   in Loop: Header=BB0_2 Depth=1
	s_wait_alu 0xfffe
	s_or_b32 exec_lo, exec_lo, s2
	s_load_b64 s[20:21], s[12:13], 0x0
	s_delay_alu instid0(VALU_DEP_1)
	v_mul_lo_u32 v4, v8, s18
	v_mul_lo_u32 v12, v7, s19
	v_mad_co_u64_u32 v[10:11], null, v7, s18, 0
	s_add_nc_u64 s[14:15], s[14:15], 1
	s_add_nc_u64 s[12:13], s[12:13], 8
	s_wait_alu 0xfffe
	v_cmp_ge_u64_e64 s2, s[14:15], s[6:7]
	s_add_nc_u64 s[16:17], s[16:17], 8
	s_delay_alu instid0(VALU_DEP_2) | instskip(NEXT) | instid1(VALU_DEP_3)
	v_add3_u32 v4, v11, v12, v4
	v_sub_co_u32 v5, vcc_lo, v5, v10
	s_wait_alu 0xfffd
	s_delay_alu instid0(VALU_DEP_2) | instskip(SKIP_3) | instid1(VALU_DEP_2)
	v_sub_co_ci_u32_e32 v4, vcc_lo, v6, v4, vcc_lo
	s_and_b32 vcc_lo, exec_lo, s2
	s_wait_kmcnt 0x0
	v_mul_lo_u32 v6, s21, v5
	v_mul_lo_u32 v4, s20, v4
	v_mad_co_u64_u32 v[1:2], null, s20, v5, v[1:2]
	s_delay_alu instid0(VALU_DEP_1)
	v_add3_u32 v2, v6, v2, v4
	s_wait_alu 0xfffe
	s_cbranch_vccnz .LBB0_9
; %bb.7:                                ;   in Loop: Header=BB0_2 Depth=1
	v_dual_mov_b32 v5, v7 :: v_dual_mov_b32 v6, v8
	s_branch .LBB0_2
.LBB0_8:
	v_dual_mov_b32 v8, v6 :: v_dual_mov_b32 v7, v5
.LBB0_9:
	s_lshl_b64 s[2:3], s[6:7], 3
	v_and_b32_e32 v6, 1, v9
	s_wait_alu 0xfffe
	s_add_nc_u64 s[2:3], s[10:11], s[2:3]
	v_mul_hi_u32 v3, 0x28f5c29, v0
	s_load_b64 s[2:3], s[2:3], 0x0
	s_load_b64 s[0:1], s[0:1], 0x20
	v_cmp_eq_u32_e32 vcc_lo, 1, v6
	s_delay_alu instid0(VALU_DEP_2) | instskip(SKIP_2) | instid1(VALU_DEP_2)
	v_mul_u32_u24_e32 v3, 0x64, v3
	s_wait_alu 0xfffd
	v_cndmask_b32_e64 v95, 0, 0x641, vcc_lo
	v_sub_nc_u32_e32 v80, v0, v3
	s_delay_alu instid0(VALU_DEP_2)
	v_lshlrev_b32_e32 v94, 4, v95
	s_wait_kmcnt 0x0
	v_mul_lo_u32 v4, s2, v8
	v_mul_lo_u32 v5, s3, v7
	v_mad_co_u64_u32 v[1:2], null, s2, v7, v[1:2]
	v_cmp_gt_u64_e32 vcc_lo, s[0:1], v[7:8]
	s_delay_alu instid0(VALU_DEP_2) | instskip(NEXT) | instid1(VALU_DEP_1)
	v_add3_u32 v2, v5, v2, v4
	v_lshlrev_b64_e32 v[82:83], 4, v[1:2]
	s_and_saveexec_b32 s1, vcc_lo
	s_cbranch_execz .LBB0_13
; %bb.10:
	v_mov_b32_e32 v81, 0
	s_delay_alu instid0(VALU_DEP_2) | instskip(SKIP_2) | instid1(VALU_DEP_3)
	v_add_co_u32 v0, s0, s8, v82
	s_wait_alu 0xf1ff
	v_add_co_ci_u32_e64 v1, s0, s9, v83, s0
	v_lshlrev_b64_e32 v[2:3], 4, v[80:81]
	s_mov_b32 s2, exec_lo
	s_delay_alu instid0(VALU_DEP_1) | instskip(SKIP_2) | instid1(VALU_DEP_3)
	v_add_co_u32 v63, s0, v0, v2
	v_lshlrev_b32_e32 v2, 4, v80
	s_wait_alu 0xf1ff
	v_add_co_ci_u32_e64 v64, s0, v1, v3, s0
	s_clause 0xf
	global_load_b128 v[3:6], v[63:64], off
	global_load_b128 v[7:10], v[63:64], off offset:1600
	global_load_b128 v[11:14], v[63:64], off offset:3200
	;; [unrolled: 1-line block ×15, first 2 shown]
	v_add3_u32 v2, 0, v94, v2
	s_wait_loadcnt 0xf
	ds_store_b128 v2, v[3:6]
	s_wait_loadcnt 0xe
	ds_store_b128 v2, v[7:10] offset:1600
	s_wait_loadcnt 0xd
	ds_store_b128 v2, v[11:14] offset:3200
	s_wait_loadcnt 0xc
	ds_store_b128 v2, v[15:18] offset:4800
	s_wait_loadcnt 0xb
	ds_store_b128 v2, v[19:22] offset:6400
	s_wait_loadcnt 0xa
	ds_store_b128 v2, v[23:26] offset:8000
	s_wait_loadcnt 0x9
	ds_store_b128 v2, v[27:30] offset:9600
	s_wait_loadcnt 0x8
	ds_store_b128 v2, v[31:34] offset:11200
	s_wait_loadcnt 0x7
	ds_store_b128 v2, v[35:38] offset:12800
	s_wait_loadcnt 0x6
	ds_store_b128 v2, v[39:42] offset:14400
	s_wait_loadcnt 0x5
	ds_store_b128 v2, v[43:46] offset:16000
	s_wait_loadcnt 0x4
	ds_store_b128 v2, v[47:50] offset:17600
	s_wait_loadcnt 0x3
	ds_store_b128 v2, v[51:54] offset:19200
	s_wait_loadcnt 0x2
	ds_store_b128 v2, v[55:58] offset:20800
	s_wait_loadcnt 0x1
	ds_store_b128 v2, v[59:62] offset:22400
	s_wait_loadcnt 0x0
	ds_store_b128 v2, v[63:66] offset:24000
	v_cmpx_eq_u32_e32 0x63, v80
	s_cbranch_execz .LBB0_12
; %bb.11:
	global_load_b128 v[3:6], v[0:1], off offset:25600
	v_mov_b32_e32 v80, 0x63
	s_wait_loadcnt 0x0
	ds_store_b128 v2, v[3:6] offset:24016
.LBB0_12:
	s_wait_alu 0xfffe
	s_or_b32 exec_lo, exec_lo, s2
.LBB0_13:
	s_wait_alu 0xfffe
	s_or_b32 exec_lo, exec_lo, s1
	v_lshl_add_u32 v92, v95, 4, 0
	v_lshlrev_b32_e32 v10, 4, v80
	global_wb scope:SCOPE_SE
	s_wait_dscnt 0x0
	s_barrier_signal -1
	s_barrier_wait -1
	global_inv scope:SCOPE_SE
	v_add_nc_u32_e32 v93, v92, v10
	v_sub_nc_u32_e32 v11, v92, v10
	s_mov_b32 s1, exec_lo
                                        ; implicit-def: $vgpr4_vgpr5
	ds_load_b64 v[6:7], v93
	ds_load_b64 v[8:9], v11 offset:25600
	s_wait_dscnt 0x0
	v_add_f64_e32 v[0:1], v[6:7], v[8:9]
	v_add_f64_e64 v[2:3], v[6:7], -v[8:9]
	v_cmpx_ne_u32_e32 0, v80
	s_wait_alu 0xfffe
	s_xor_b32 s1, exec_lo, s1
	s_cbranch_execz .LBB0_15
; %bb.14:
	v_mov_b32_e32 v81, 0
	v_add_f64_e32 v[14:15], v[6:7], v[8:9]
	v_add_f64_e64 v[16:17], v[6:7], -v[8:9]
	s_delay_alu instid0(VALU_DEP_3) | instskip(NEXT) | instid1(VALU_DEP_1)
	v_lshlrev_b64_e32 v[0:1], 4, v[80:81]
	v_add_co_u32 v0, s0, s4, v0
	s_wait_alu 0xf1ff
	s_delay_alu instid0(VALU_DEP_2)
	v_add_co_ci_u32_e64 v1, s0, s5, v1, s0
	global_load_b128 v[2:5], v[0:1], off offset:25440
	ds_load_b64 v[0:1], v11 offset:25608
	ds_load_b64 v[12:13], v93 offset:8
	s_wait_dscnt 0x0
	v_add_f64_e32 v[6:7], v[0:1], v[12:13]
	v_add_f64_e64 v[0:1], v[12:13], -v[0:1]
	s_wait_loadcnt 0x0
	v_fma_f64 v[8:9], v[16:17], v[4:5], v[14:15]
	v_fma_f64 v[12:13], -v[16:17], v[4:5], v[14:15]
	s_delay_alu instid0(VALU_DEP_3) | instskip(SKIP_1) | instid1(VALU_DEP_4)
	v_fma_f64 v[14:15], v[6:7], v[4:5], -v[0:1]
	v_fma_f64 v[4:5], v[6:7], v[4:5], v[0:1]
	v_fma_f64 v[0:1], -v[6:7], v[2:3], v[8:9]
	s_delay_alu instid0(VALU_DEP_4) | instskip(NEXT) | instid1(VALU_DEP_4)
	v_fma_f64 v[6:7], v[6:7], v[2:3], v[12:13]
	v_fma_f64 v[8:9], v[16:17], v[2:3], v[14:15]
	s_delay_alu instid0(VALU_DEP_4)
	v_fma_f64 v[2:3], v[16:17], v[2:3], v[4:5]
	v_dual_mov_b32 v4, v80 :: v_dual_mov_b32 v5, v81
	ds_store_b128 v11, v[6:9] offset:25600
.LBB0_15:
	s_wait_alu 0xfffe
	s_and_not1_saveexec_b32 s0, s1
	s_cbranch_execz .LBB0_17
; %bb.16:
	ds_load_b128 v[4:7], v92 offset:12800
	s_wait_dscnt 0x0
	v_add_f64_e32 v[12:13], v[4:5], v[4:5]
	v_mul_f64_e32 v[14:15], -2.0, v[6:7]
	v_mov_b32_e32 v4, 0
	v_mov_b32_e32 v5, 0
	ds_store_b128 v92, v[12:15] offset:12800
.LBB0_17:
	s_wait_alu 0xfffe
	s_or_b32 exec_lo, exec_lo, s0
	v_lshlrev_b64_e32 v[4:5], 4, v[4:5]
	s_add_nc_u64 s[0:1], s[4:5], 0x6360
	v_add3_u32 v81, 0, v10, v94
	s_mov_b32 s6, 0x134454ff
	s_mov_b32 s7, 0xbfee6f0e
	;; [unrolled: 1-line block ×3, first 2 shown]
	s_wait_alu 0xfffe
	v_add_co_u32 v24, s0, s0, v4
	s_wait_alu 0xf1ff
	v_add_co_ci_u32_e64 v25, s0, s1, v5, s0
	s_mov_b32 s1, 0x3fee6f0e
	s_mov_b32 s0, s6
	;; [unrolled: 1-line block ×3, first 2 shown]
	s_clause 0x1
	global_load_b128 v[4:7], v[24:25], off offset:1600
	global_load_b128 v[12:15], v[24:25], off offset:3200
	ds_store_b128 v93, v[0:3]
	ds_load_b128 v[0:3], v93 offset:1600
	ds_load_b128 v[16:19], v11 offset:24000
	global_load_b128 v[20:23], v[24:25], off offset:4800
	s_mov_b32 s3, 0x3fe2cf23
	s_mov_b32 s2, s10
	;; [unrolled: 1-line block ×9, first 2 shown]
	s_wait_alu 0xfffe
	s_mov_b32 s18, s14
	s_wait_dscnt 0x0
	v_add_f64_e32 v[8:9], v[0:1], v[16:17]
	v_add_f64_e32 v[26:27], v[18:19], v[2:3]
	v_add_f64_e64 v[16:17], v[0:1], -v[16:17]
	v_add_f64_e64 v[0:1], v[2:3], -v[18:19]
	s_wait_loadcnt 0x2
	s_delay_alu instid0(VALU_DEP_2) | instskip(NEXT) | instid1(VALU_DEP_2)
	v_fma_f64 v[2:3], v[16:17], v[6:7], v[8:9]
	v_fma_f64 v[18:19], v[26:27], v[6:7], v[0:1]
	v_fma_f64 v[8:9], -v[16:17], v[6:7], v[8:9]
	v_fma_f64 v[28:29], v[26:27], v[6:7], -v[0:1]
	s_delay_alu instid0(VALU_DEP_4) | instskip(NEXT) | instid1(VALU_DEP_4)
	v_fma_f64 v[0:1], -v[26:27], v[4:5], v[2:3]
	v_fma_f64 v[2:3], v[16:17], v[4:5], v[18:19]
	s_delay_alu instid0(VALU_DEP_4) | instskip(NEXT) | instid1(VALU_DEP_4)
	v_fma_f64 v[6:7], v[26:27], v[4:5], v[8:9]
	v_fma_f64 v[8:9], v[16:17], v[4:5], v[28:29]
	ds_store_b128 v93, v[0:3] offset:1600
	ds_store_b128 v11, v[6:9] offset:24000
	ds_load_b128 v[0:3], v93 offset:3200
	ds_load_b128 v[4:7], v11 offset:22400
	global_load_b128 v[16:19], v[24:25], off offset:6400
	s_wait_dscnt 0x0
	v_add_f64_e32 v[8:9], v[0:1], v[4:5]
	v_add_f64_e32 v[26:27], v[6:7], v[2:3]
	v_add_f64_e64 v[28:29], v[0:1], -v[4:5]
	v_add_f64_e64 v[0:1], v[2:3], -v[6:7]
	s_wait_loadcnt 0x2
	s_delay_alu instid0(VALU_DEP_2) | instskip(NEXT) | instid1(VALU_DEP_2)
	v_fma_f64 v[2:3], v[28:29], v[14:15], v[8:9]
	v_fma_f64 v[4:5], v[26:27], v[14:15], v[0:1]
	v_fma_f64 v[6:7], -v[28:29], v[14:15], v[8:9]
	v_fma_f64 v[8:9], v[26:27], v[14:15], -v[0:1]
	s_delay_alu instid0(VALU_DEP_4) | instskip(NEXT) | instid1(VALU_DEP_4)
	v_fma_f64 v[0:1], -v[26:27], v[12:13], v[2:3]
	v_fma_f64 v[2:3], v[28:29], v[12:13], v[4:5]
	s_delay_alu instid0(VALU_DEP_4) | instskip(NEXT) | instid1(VALU_DEP_4)
	v_fma_f64 v[4:5], v[26:27], v[12:13], v[6:7]
	v_fma_f64 v[6:7], v[28:29], v[12:13], v[8:9]
	ds_store_b128 v93, v[0:3] offset:3200
	ds_store_b128 v11, v[4:7] offset:22400
	ds_load_b128 v[0:3], v93 offset:4800
	ds_load_b128 v[4:7], v11 offset:20800
	global_load_b128 v[12:15], v[24:25], off offset:8000
	;; [unrolled: 22-line block ×4, first 2 shown]
	s_wait_dscnt 0x0
	v_add_f64_e32 v[8:9], v[0:1], v[4:5]
	v_add_f64_e32 v[24:25], v[6:7], v[2:3]
	v_add_f64_e64 v[26:27], v[0:1], -v[4:5]
	v_add_f64_e64 v[0:1], v[2:3], -v[6:7]
	s_wait_loadcnt 0x2
	s_delay_alu instid0(VALU_DEP_2) | instskip(NEXT) | instid1(VALU_DEP_2)
	v_fma_f64 v[2:3], v[26:27], v[14:15], v[8:9]
	v_fma_f64 v[4:5], v[24:25], v[14:15], v[0:1]
	v_fma_f64 v[6:7], -v[26:27], v[14:15], v[8:9]
	v_fma_f64 v[8:9], v[24:25], v[14:15], -v[0:1]
	s_delay_alu instid0(VALU_DEP_4) | instskip(NEXT) | instid1(VALU_DEP_4)
	v_fma_f64 v[0:1], -v[24:25], v[12:13], v[2:3]
	v_fma_f64 v[2:3], v[26:27], v[12:13], v[4:5]
	s_delay_alu instid0(VALU_DEP_4) | instskip(NEXT) | instid1(VALU_DEP_4)
	v_fma_f64 v[4:5], v[24:25], v[12:13], v[6:7]
	v_fma_f64 v[6:7], v[26:27], v[12:13], v[8:9]
	ds_store_b128 v93, v[0:3] offset:8000
	ds_store_b128 v11, v[4:7] offset:17600
	ds_load_b128 v[0:3], v93 offset:9600
	ds_load_b128 v[4:7], v11 offset:16000
	s_wait_dscnt 0x0
	v_add_f64_e32 v[8:9], v[0:1], v[4:5]
	v_add_f64_e32 v[12:13], v[6:7], v[2:3]
	v_add_f64_e64 v[14:15], v[0:1], -v[4:5]
	v_add_f64_e64 v[0:1], v[2:3], -v[6:7]
	s_wait_loadcnt 0x1
	s_delay_alu instid0(VALU_DEP_2) | instskip(NEXT) | instid1(VALU_DEP_2)
	v_fma_f64 v[2:3], v[14:15], v[22:23], v[8:9]
	v_fma_f64 v[4:5], v[12:13], v[22:23], v[0:1]
	v_fma_f64 v[6:7], -v[14:15], v[22:23], v[8:9]
	v_fma_f64 v[8:9], v[12:13], v[22:23], -v[0:1]
	s_delay_alu instid0(VALU_DEP_4) | instskip(NEXT) | instid1(VALU_DEP_4)
	v_fma_f64 v[0:1], -v[12:13], v[20:21], v[2:3]
	v_fma_f64 v[2:3], v[14:15], v[20:21], v[4:5]
	s_delay_alu instid0(VALU_DEP_4) | instskip(NEXT) | instid1(VALU_DEP_4)
	v_fma_f64 v[4:5], v[12:13], v[20:21], v[6:7]
	v_fma_f64 v[6:7], v[14:15], v[20:21], v[8:9]
	ds_store_b128 v93, v[0:3] offset:9600
	ds_store_b128 v11, v[4:7] offset:16000
	ds_load_b128 v[0:3], v93 offset:11200
	ds_load_b128 v[4:7], v11 offset:14400
	s_wait_dscnt 0x0
	v_add_f64_e32 v[8:9], v[0:1], v[4:5]
	v_add_f64_e32 v[12:13], v[6:7], v[2:3]
	v_add_f64_e64 v[14:15], v[0:1], -v[4:5]
	v_add_f64_e64 v[0:1], v[2:3], -v[6:7]
	s_wait_loadcnt 0x0
	s_delay_alu instid0(VALU_DEP_2) | instskip(NEXT) | instid1(VALU_DEP_2)
	v_fma_f64 v[2:3], v[14:15], v[18:19], v[8:9]
	v_fma_f64 v[4:5], v[12:13], v[18:19], v[0:1]
	v_fma_f64 v[6:7], -v[14:15], v[18:19], v[8:9]
	v_fma_f64 v[8:9], v[12:13], v[18:19], -v[0:1]
	s_delay_alu instid0(VALU_DEP_4) | instskip(NEXT) | instid1(VALU_DEP_4)
	v_fma_f64 v[0:1], -v[12:13], v[16:17], v[2:3]
	v_fma_f64 v[2:3], v[14:15], v[16:17], v[4:5]
	s_delay_alu instid0(VALU_DEP_4) | instskip(NEXT) | instid1(VALU_DEP_4)
	v_fma_f64 v[4:5], v[12:13], v[16:17], v[6:7]
	v_fma_f64 v[6:7], v[14:15], v[16:17], v[8:9]
	ds_store_b128 v93, v[0:3] offset:11200
	ds_store_b128 v11, v[4:7] offset:14400
	global_wb scope:SCOPE_SE
	s_wait_dscnt 0x0
	s_barrier_signal -1
	s_barrier_wait -1
	global_inv scope:SCOPE_SE
	global_wb scope:SCOPE_SE
	s_barrier_signal -1
	s_barrier_wait -1
	global_inv scope:SCOPE_SE
	ds_load_b128 v[74:77], v81 offset:5120
	ds_load_b128 v[0:3], v93
	ds_load_b128 v[64:67], v81 offset:10240
	ds_load_b128 v[56:59], v81 offset:15360
	ds_load_b128 v[4:7], v81 offset:20480
	ds_load_b128 v[60:63], v81 offset:12800
	ds_load_b128 v[12:15], v81 offset:17920
	ds_load_b128 v[28:31], v81 offset:1600
	ds_load_b128 v[32:35], v81 offset:6720
	ds_load_b128 v[24:27], v81 offset:11840
	ds_load_b128 v[20:23], v81 offset:16960
	ds_load_b128 v[16:19], v81 offset:22080
	ds_load_b128 v[40:43], v81 offset:14400
	ds_load_b128 v[36:39], v81 offset:19520
	ds_load_b128 v[8:11], v81 offset:23040
	ds_load_b128 v[88:91], v81 offset:7680
	ds_load_b128 v[68:71], v81 offset:2560
	ds_load_b128 v[48:51], v81 offset:4160
	ds_load_b128 v[52:55], v81 offset:9280
	ds_load_b128 v[44:47], v81 offset:24640
	global_wb scope:SCOPE_SE
	s_wait_dscnt 0x0
	v_add_f64_e32 v[98:99], v[2:3], v[76:77]
	v_add_f64_e64 v[114:115], v[64:65], -v[74:75]
	v_add_f64_e32 v[100:101], v[64:65], v[56:57]
	v_add_f64_e32 v[102:103], v[74:75], v[4:5]
	;; [unrolled: 1-line block ×5, first 2 shown]
	v_add_f64_e64 v[116:117], v[56:57], -v[4:5]
	v_add_f64_e32 v[124:125], v[62:63], v[14:15]
	v_add_f64_e32 v[96:97], v[0:1], v[74:75]
	v_add_f64_e64 v[72:73], v[76:77], -v[6:7]
	v_add_f64_e64 v[78:79], v[66:67], -v[58:59]
	;; [unrolled: 1-line block ×4, first 2 shown]
	v_add_f64_e32 v[122:123], v[88:89], v[8:9]
	v_add_f64_e32 v[126:127], v[90:91], v[10:11]
	;; [unrolled: 1-line block ×3, first 2 shown]
	v_add_f64_e64 v[118:119], v[76:77], -v[66:67]
	v_add_f64_e64 v[120:121], v[66:67], -v[76:77]
	;; [unrolled: 1-line block ×3, first 2 shown]
	v_add_f64_e32 v[132:133], v[70:71], v[90:91]
	v_add_f64_e64 v[134:135], v[58:59], -v[6:7]
	v_add_f64_e64 v[136:137], v[88:89], -v[60:61]
	;; [unrolled: 1-line block ×13, first 2 shown]
	v_add_f64_e32 v[164:165], v[42:43], v[38:39]
	v_add_f64_e64 v[76:77], v[64:65], -v[56:57]
	v_add_f64_e64 v[86:87], v[62:63], -v[14:15]
	;; [unrolled: 1-line block ×3, first 2 shown]
	v_add_f64_e32 v[66:67], v[98:99], v[66:67]
	v_add_f64_e32 v[98:99], v[54:55], v[46:47]
	v_fma_f64 v[100:101], v[100:101], -0.5, v[0:1]
	v_fma_f64 v[0:1], v[102:103], -0.5, v[0:1]
	;; [unrolled: 1-line block ×4, first 2 shown]
	v_add_f64_e64 v[106:107], v[52:53], -v[40:41]
	v_fma_f64 v[108:109], v[108:109], -0.5, v[68:69]
	v_add_f64_e32 v[114:115], v[114:115], v[116:117]
	v_add_f64_e32 v[116:117], v[40:41], v[36:37]
	v_add_f64_e64 v[152:153], v[32:33], -v[24:25]
	v_add_f64_e64 v[154:155], v[16:17], -v[20:21]
	;; [unrolled: 1-line block ×4, first 2 shown]
	v_fma_f64 v[68:69], v[122:123], -0.5, v[68:69]
	v_fma_f64 v[122:123], v[124:125], -0.5, v[70:71]
	;; [unrolled: 1-line block ×3, first 2 shown]
	v_add_f64_e64 v[124:125], v[44:45], -v[36:37]
	v_add_f64_e64 v[126:127], v[40:41], -v[52:53]
	v_add_f64_e32 v[60:61], v[130:131], v[60:61]
	v_add_f64_e64 v[130:131], v[36:37], -v[44:45]
	v_add_f64_e32 v[64:65], v[96:97], v[64:65]
	v_add_f64_e64 v[96:97], v[26:27], -v[34:35]
	v_add_f64_e64 v[104:105], v[22:23], -v[18:19]
	v_add_f64_e32 v[62:63], v[132:133], v[62:63]
	v_add_f64_e64 v[132:133], v[54:55], -v[42:43]
	v_add_f64_e32 v[110:111], v[110:111], v[112:113]
	;; [unrolled: 2-line block ×4, first 2 shown]
	v_add_f64_e32 v[134:135], v[52:53], v[44:45]
	v_add_f64_e32 v[136:137], v[136:137], v[144:145]
	v_add_f64_e64 v[144:145], v[38:39], -v[46:47]
	v_add_f64_e32 v[138:139], v[138:139], v[146:147]
	v_add_f64_e64 v[146:147], v[52:53], -v[44:45]
	v_fma_f64 v[164:165], v[164:165], -0.5, v[50:51]
	v_add_f64_e32 v[140:141], v[140:141], v[148:149]
	v_add_f64_e64 v[148:149], v[40:41], -v[36:37]
	v_add_f64_e32 v[142:143], v[142:143], v[150:151]
	v_fma_f64 v[98:99], v[98:99], -0.5, v[50:51]
	v_fma_f64 v[150:151], v[72:73], s[6:7], v[100:101]
	v_fma_f64 v[100:101], v[72:73], s[0:1], v[100:101]
	v_add_f64_e32 v[160:161], v[160:161], v[162:163]
	v_add_f64_e64 v[162:163], v[54:55], -v[46:47]
	v_add_f64_e32 v[58:59], v[66:67], v[58:59]
	v_add_f64_e64 v[74:75], v[74:75], -v[4:5]
	v_fma_f64 v[116:117], v[116:117], -0.5, v[48:49]
	s_barrier_signal -1
	v_add_f64_e32 v[152:153], v[152:153], v[154:155]
	v_add_f64_e32 v[154:155], v[24:25], v[20:21]
	;; [unrolled: 1-line block ×4, first 2 shown]
	s_barrier_wait -1
	v_fma_f64 v[66:67], v[84:85], s[0:1], v[70:71]
	v_add_f64_e32 v[106:107], v[106:107], v[124:125]
	global_inv scope:SCOPE_SE
	v_add_f64_e32 v[12:13], v[60:61], v[12:13]
	v_add_f64_e32 v[124:125], v[126:127], v[130:131]
	v_fma_f64 v[126:127], v[90:91], s[6:7], v[108:109]
	v_fma_f64 v[108:109], v[90:91], s[0:1], v[108:109]
	v_add_f64_e32 v[96:97], v[96:97], v[104:105]
	v_add_f64_e64 v[104:105], v[42:43], -v[38:39]
	v_fma_f64 v[130:131], v[86:87], s[0:1], v[68:69]
	v_fma_f64 v[68:69], v[86:87], s[6:7], v[68:69]
	v_add_f64_e32 v[112:113], v[132:133], v[112:113]
	v_add_f64_e32 v[56:57], v[64:65], v[56:57]
	v_fma_f64 v[64:65], v[84:85], s[6:7], v[70:71]
	v_add_f64_e32 v[14:15], v[62:63], v[14:15]
	v_fma_f64 v[132:133], v[134:135], -0.5, v[48:49]
	v_add_f64_e32 v[134:135], v[26:27], v[22:23]
	v_add_f64_e32 v[128:129], v[128:129], v[144:145]
	v_fma_f64 v[144:145], v[88:89], s[0:1], v[122:123]
	v_fma_f64 v[122:123], v[88:89], s[6:7], v[122:123]
	;; [unrolled: 1-line block ×10, first 2 shown]
	v_add_f64_e32 v[100:101], v[34:35], v[18:19]
	v_add_f64_e32 v[6:7], v[58:59], v[6:7]
	v_fma_f64 v[154:155], v[154:155], -0.5, v[28:29]
	v_fma_f64 v[158:159], v[158:159], -0.5, v[28:29]
	v_fma_f64 v[66:67], v[88:89], s[10:11], v[66:67]
	v_add_f64_e32 v[8:9], v[12:13], v[8:9]
	v_fma_f64 v[126:127], v[86:87], s[10:11], v[126:127]
	v_fma_f64 v[86:87], v[86:87], s[2:3], v[108:109]
	v_fma_f64 v[108:109], v[162:163], s[6:7], v[116:117]
	v_fma_f64 v[116:117], v[162:163], s[0:1], v[116:117]
	v_fma_f64 v[130:131], v[90:91], s[10:11], v[130:131]
	v_fma_f64 v[68:69], v[90:91], s[2:3], v[68:69]
	v_add_f64_e32 v[4:5], v[56:57], v[4:5]
	v_fma_f64 v[64:65], v[88:89], s[2:3], v[64:65]
	v_add_f64_e64 v[88:89], v[26:27], -v[22:23]
	v_fma_f64 v[90:91], v[104:105], s[0:1], v[132:133]
	v_fma_f64 v[132:133], v[104:105], s[6:7], v[132:133]
	v_fma_f64 v[134:135], v[134:135], -0.5, v[30:31]
	v_fma_f64 v[144:145], v[84:85], s[2:3], v[144:145]
	v_fma_f64 v[84:85], v[84:85], s[10:11], v[122:123]
	v_add_f64_e64 v[122:123], v[34:35], -v[18:19]
	v_fma_f64 v[60:61], v[148:149], s[2:3], v[60:61]
	v_fma_f64 v[62:63], v[148:149], s[10:11], v[62:63]
	v_add_f64_e64 v[148:149], v[32:33], -v[16:17]
	;; [unrolled: 3-line block ×3, first 2 shown]
	v_fma_f64 v[70:71], v[72:73], s[10:11], v[70:71]
	v_fma_f64 v[100:101], v[100:101], -0.5, v[30:31]
	v_fma_f64 v[0:1], v[72:73], s[2:3], v[0:1]
	v_add_f64_e32 v[10:11], v[14:15], v[10:11]
	v_fma_f64 v[66:67], v[142:143], s[12:13], v[66:67]
	v_fma_f64 v[126:127], v[136:137], s[12:13], v[126:127]
	;; [unrolled: 1-line block ×32, first 2 shown]
	v_mul_f64_e32 v[138:139], s[6:7], v[66:67]
	v_mul_f64_e32 v[66:67], s[16:17], v[66:67]
	v_fma_f64 v[108:109], v[106:107], s[12:13], v[108:109]
	v_fma_f64 v[104:105], v[106:107], s[12:13], v[104:105]
	;; [unrolled: 1-line block ×5, first 2 shown]
	v_mul_f64_e32 v[142:143], s[2:3], v[126:127]
	v_fma_f64 v[90:91], v[124:125], s[12:13], v[90:91]
	v_fma_f64 v[102:103], v[74:75], s[2:3], v[162:163]
	;; [unrolled: 1-line block ×4, first 2 shown]
	v_mul_f64_e32 v[106:107], s[10:11], v[84:85]
	v_fma_f64 v[74:75], v[88:89], s[10:11], v[140:141]
	v_fma_f64 v[88:89], v[88:89], s[2:3], v[154:155]
	;; [unrolled: 1-line block ×3, first 2 shown]
	s_wait_alu 0xfffe
	v_mul_f64_e32 v[84:85], s[18:19], v[84:85]
	v_mul_f64_e32 v[132:133], s[10:11], v[166:167]
	v_fma_f64 v[140:141], v[146:147], s[2:3], v[62:63]
	v_fma_f64 v[112:113], v[146:147], s[10:11], v[112:113]
	v_mul_f64_e32 v[62:63], s[10:11], v[144:145]
	v_mul_f64_e32 v[146:147], s[6:7], v[64:65]
	v_fma_f64 v[128:129], v[148:149], s[2:3], v[128:129]
	v_mul_f64_e32 v[64:65], s[12:13], v[64:65]
	v_fma_f64 v[100:101], v[148:149], s[10:11], v[100:101]
	v_mul_f64_e32 v[136:137], s[6:7], v[134:135]
	v_mul_f64_e32 v[148:149], s[6:7], v[98:99]
	;; [unrolled: 1-line block ×6, first 2 shown]
	v_fma_f64 v[138:139], v[68:69], s[16:17], v[138:139]
	v_mul_f64_e32 v[154:155], s[2:3], v[108:109]
	v_fma_f64 v[164:165], v[118:119], s[12:13], v[76:77]
	v_fma_f64 v[58:59], v[156:157], s[12:13], v[116:117]
	;; [unrolled: 1-line block ×26, first 2 shown]
	v_add_f64_e32 v[97:98], v[4:5], v[8:9]
	v_add_f64_e32 v[99:100], v[6:7], v[10:11]
	v_add_f64_e64 v[101:102], v[4:5], -v[8:9]
	v_fma_f64 v[76:77], v[166:167], s[14:15], v[154:155]
	v_add_f64_e64 v[103:104], v[6:7], -v[10:11]
	v_mul_u32_u24_e32 v96, 10, v80
	v_cmp_gt_u32_e64 s0, 60, v80
	s_delay_alu instid0(VALU_DEP_2) | instskip(NEXT) | instid1(VALU_DEP_1)
	v_lshl_add_u32 v96, v96, 4, 0
	v_add_nc_u32_e32 v137, v96, v94
	v_add_f64_e32 v[107:108], v[120:121], v[118:119]
	v_add_f64_e32 v[123:124], v[2:3], v[142:143]
	v_add_f64_e64 v[135:136], v[164:165], -v[144:145]
	v_add_f64_e32 v[105:106], v[114:115], v[110:111]
	v_add_f64_e64 v[109:110], v[114:115], -v[110:111]
	v_add_f64_e64 v[111:112], v[120:121], -v[118:119]
	v_add_f64_e32 v[113:114], v[12:13], v[126:127]
	v_add_f64_e32 v[115:116], v[14:15], v[130:131]
	v_add_f64_e64 v[117:118], v[12:13], -v[126:127]
	v_add_f64_e64 v[119:120], v[14:15], -v[130:131]
	v_add_f64_e32 v[121:122], v[0:1], v[138:139]
	v_add_f64_e64 v[125:126], v[0:1], -v[138:139]
	v_add_f64_e64 v[127:128], v[2:3], -v[142:143]
	;; [unrolled: 1-line block ×10, first 2 shown]
	v_add_f64_e32 v[129:130], v[150:151], v[140:141]
	v_add_f64_e32 v[131:132], v[164:165], v[144:145]
	v_add_f64_e64 v[133:134], v[150:151], -v[140:141]
	ds_store_b128 v137, v[97:100]
	ds_store_b128 v137, v[105:108] offset:16
	ds_store_b128 v137, v[113:116] offset:32
	;; [unrolled: 1-line block ×9, first 2 shown]
	s_and_saveexec_b32 s1, s0
	s_cbranch_execz .LBB0_19
; %bb.18:
	v_add_f64_e32 v[30:31], v[30:31], v[34:35]
	v_add_f64_e32 v[34:35], v[50:51], v[54:55]
	;; [unrolled: 1-line block ×4, first 2 shown]
	s_delay_alu instid0(VALU_DEP_4) | instskip(NEXT) | instid1(VALU_DEP_4)
	v_add_f64_e32 v[26:27], v[30:31], v[26:27]
	v_add_f64_e32 v[30:31], v[34:35], v[42:43]
	s_delay_alu instid0(VALU_DEP_4) | instskip(NEXT) | instid1(VALU_DEP_4)
	v_add_f64_e32 v[24:25], v[28:29], v[24:25]
	v_add_f64_e32 v[28:29], v[32:33], v[40:41]
	;; [unrolled: 3-line block ×4, first 2 shown]
	v_add_f64_e32 v[30:31], v[70:71], v[76:77]
	v_add_f64_e32 v[28:29], v[56:57], v[60:61]
	;; [unrolled: 1-line block ×13, first 2 shown]
	v_add_f64_e64 v[38:39], v[36:37], -v[38:39]
	v_add_f64_e32 v[32:33], v[40:41], v[42:43]
	v_add_f64_e64 v[36:37], v[40:41], -v[42:43]
	v_lshl_add_u32 v40, v95, 4, v96
	ds_store_b128 v40, v[0:3] offset:16096
	ds_store_b128 v40, v[8:11] offset:16112
	;; [unrolled: 1-line block ×10, first 2 shown]
.LBB0_19:
	s_wait_alu 0xfffe
	s_or_b32 exec_lo, exec_lo, s1
	v_and_b32_e32 v16, 0xff, v80
	global_wb scope:SCOPE_SE
	s_wait_dscnt 0x0
	s_barrier_signal -1
	s_barrier_wait -1
	global_inv scope:SCOPE_SE
	v_mul_lo_u16 v16, 0xcd, v16
	s_mov_b32 s2, 0x667f3bcd
	s_mov_b32 s3, 0xbfe6a09e
	;; [unrolled: 1-line block ×3, first 2 shown]
	s_wait_alu 0xfffe
	s_mov_b32 s6, s2
	v_lshrrev_b16 v41, 11, v16
	s_mov_b32 s10, 0xcf328d46
	s_mov_b32 s11, 0xbfed906b
	;; [unrolled: 1-line block ×3, first 2 shown]
	s_wait_alu 0xfffe
	s_mov_b32 s16, s10
	v_mul_lo_u16 v16, v41, 10
	s_mov_b32 s12, 0xa6aea964
	s_mov_b32 s13, 0x3fd87de2
	;; [unrolled: 1-line block ×3, first 2 shown]
	s_wait_alu 0xfffe
	s_mov_b32 s14, s12
	v_sub_nc_u16 v16, v80, v16
	v_and_b32_e32 v41, 0xffff, v41
	s_delay_alu instid0(VALU_DEP_2) | instskip(NEXT) | instid1(VALU_DEP_2)
	v_and_b32_e32 v40, 0xff, v16
	v_mul_u32_u24_e32 v41, 0xa0, v41
	s_delay_alu instid0(VALU_DEP_2) | instskip(NEXT) | instid1(VALU_DEP_2)
	v_mul_u32_u24_e32 v16, 15, v40
	v_or_b32_e32 v40, v41, v40
	s_delay_alu instid0(VALU_DEP_2) | instskip(NEXT) | instid1(VALU_DEP_2)
	v_lshlrev_b32_e32 v74, 4, v16
	v_lshlrev_b32_e32 v40, 4, v40
	s_clause 0xe
	global_load_b128 v[16:19], v74, s[4:5]
	global_load_b128 v[20:23], v74, s[4:5] offset:16
	global_load_b128 v[24:27], v74, s[4:5] offset:32
	;; [unrolled: 1-line block ×14, first 2 shown]
	ds_load_b128 v[84:87], v81 offset:1600
	ds_load_b128 v[88:91], v81 offset:3200
	;; [unrolled: 1-line block ×4, first 2 shown]
	ds_load_b128 v[103:106], v93
	ds_load_b128 v[107:110], v81 offset:8000
	ds_load_b128 v[111:114], v81 offset:9600
	;; [unrolled: 1-line block ×11, first 2 shown]
	v_add3_u32 v40, 0, v40, v94
	global_wb scope:SCOPE_SE
	s_wait_loadcnt_dscnt 0x0
	s_barrier_signal -1
	s_barrier_wait -1
	global_inv scope:SCOPE_SE
	v_mul_f64_e32 v[78:79], v[86:87], v[18:19]
	v_mul_f64_e32 v[18:19], v[84:85], v[18:19]
	;; [unrolled: 1-line block ×16, first 2 shown]
	v_fma_f64 v[78:79], v[84:85], v[16:17], v[78:79]
	v_fma_f64 v[16:17], v[86:87], v[16:17], -v[18:19]
	v_mul_f64_e32 v[18:19], v[125:126], v[52:53]
	v_mul_f64_e32 v[52:53], v[123:124], v[52:53]
	v_mul_f64_e32 v[84:85], v[129:130], v[56:57]
	v_mul_f64_e32 v[56:57], v[127:128], v[56:57]
	v_fma_f64 v[86:87], v[88:89], v[20:21], v[151:152]
	v_fma_f64 v[20:21], v[90:91], v[20:21], -v[22:23]
	v_mul_f64_e32 v[22:23], v[133:134], v[60:61]
	v_mul_f64_e32 v[60:61], v[131:132], v[60:61]
	v_mul_f64_e32 v[88:89], v[145:146], v[64:65]
	v_mul_f64_e32 v[64:65], v[143:144], v[64:65]
	v_fma_f64 v[90:91], v[95:96], v[24:25], v[153:154]
	v_fma_f64 v[24:25], v[97:98], v[24:25], -v[26:27]
	v_mul_f64_e32 v[26:27], v[137:138], v[68:69]
	v_mul_f64_e32 v[68:69], v[135:136], v[68:69]
	v_mul_f64_e32 v[95:96], v[141:142], v[72:73]
	v_mul_f64_e32 v[72:73], v[139:140], v[72:73]
	v_fma_f64 v[97:98], v[99:100], v[28:29], v[155:156]
	v_fma_f64 v[28:29], v[101:102], v[28:29], -v[30:31]
	v_mul_f64_e32 v[30:31], v[147:148], v[76:77]
	v_mul_f64_e32 v[76:77], v[149:150], v[76:77]
	v_fma_f64 v[99:100], v[107:108], v[32:33], v[157:158]
	v_fma_f64 v[32:33], v[109:110], v[32:33], -v[34:35]
	v_fma_f64 v[34:35], v[111:112], v[36:37], v[159:160]
	v_fma_f64 v[36:37], v[113:114], v[36:37], -v[38:39]
	;; [unrolled: 2-line block ×10, first 2 shown]
	v_fma_f64 v[30:31], v[149:150], v[74:75], -v[30:31]
	v_fma_f64 v[66:67], v[147:148], v[74:75], v[76:77]
	v_add_f64_e64 v[44:45], v[103:104], -v[44:45]
	v_add_f64_e64 v[46:47], v[105:106], -v[46:47]
	;; [unrolled: 1-line block ×16, first 2 shown]
	v_fma_f64 v[101:102], v[103:104], 2.0, -v[44:45]
	v_fma_f64 v[103:104], v[105:106], 2.0, -v[46:47]
	;; [unrolled: 1-line block ×3, first 2 shown]
	v_add_f64_e64 v[70:71], v[46:47], -v[22:23]
	v_add_f64_e32 v[68:69], v[44:45], v[48:49]
	v_fma_f64 v[22:23], v[97:98], 2.0, -v[22:23]
	v_fma_f64 v[28:29], v[28:29], 2.0, -v[48:49]
	v_add_f64_e64 v[74:75], v[54:55], -v[56:57]
	v_add_f64_e32 v[72:73], v[58:59], v[60:61]
	v_add_f64_e64 v[84:85], v[50:51], -v[26:27]
	v_add_f64_e32 v[76:77], v[18:19], v[52:53]
	v_fma_f64 v[48:49], v[86:87], 2.0, -v[58:59]
	v_fma_f64 v[20:21], v[20:21], 2.0, -v[54:55]
	;; [unrolled: 1-line block ×4, first 2 shown]
	v_add_f64_e32 v[88:89], v[62:63], v[30:31]
	v_add_f64_e64 v[95:96], v[64:65], -v[66:67]
	v_fma_f64 v[56:57], v[78:79], 2.0, -v[18:19]
	v_fma_f64 v[26:27], v[99:100], 2.0, -v[26:27]
	;; [unrolled: 1-line block ×9, first 2 shown]
	v_add_f64_e64 v[22:23], v[101:102], -v[22:23]
	v_fma_f64 v[54:55], v[54:55], 2.0, -v[74:75]
	v_fma_f64 v[46:47], v[58:59], 2.0, -v[72:73]
	;; [unrolled: 1-line block ×4, first 2 shown]
	v_add_f64_e64 v[28:29], v[103:104], -v[28:29]
	v_add_f64_e64 v[34:35], v[48:49], -v[34:35]
	;; [unrolled: 1-line block ×3, first 2 shown]
	v_fma_f64 v[58:59], v[62:63], 2.0, -v[88:89]
	v_fma_f64 v[60:61], v[64:65], 2.0, -v[95:96]
	v_fma_f64 v[62:63], v[72:73], s[6:7], v[68:69]
	v_add_f64_e64 v[26:27], v[56:57], -v[26:27]
	v_add_f64_e64 v[32:33], v[16:17], -v[32:33]
	v_fma_f64 v[64:65], v[74:75], s[6:7], v[70:71]
	v_fma_f64 v[66:67], v[88:89], s[6:7], v[76:77]
	v_add_f64_e64 v[30:31], v[24:25], -v[30:31]
	v_add_f64_e64 v[38:39], v[52:53], -v[38:39]
	v_fma_f64 v[78:79], v[95:96], s[6:7], v[84:85]
	v_fma_f64 v[101:102], v[101:102], 2.0, -v[22:23]
	v_fma_f64 v[90:91], v[54:55], s[2:3], v[44:45]
	v_fma_f64 v[86:87], v[46:47], s[2:3], v[42:43]
	v_fma_f64 v[103:104], v[103:104], 2.0, -v[28:29]
	v_fma_f64 v[48:49], v[48:49], 2.0, -v[34:35]
	;; [unrolled: 1-line block ×3, first 2 shown]
	v_fma_f64 v[97:98], v[58:59], s[2:3], v[18:19]
	v_fma_f64 v[99:100], v[60:61], s[2:3], v[50:51]
	v_add_f64_e32 v[105:106], v[22:23], v[36:37]
	v_add_f64_e64 v[107:108], v[28:29], -v[34:35]
	v_fma_f64 v[62:63], v[74:75], s[6:7], v[62:63]
	v_fma_f64 v[64:65], v[72:73], s[2:3], v[64:65]
	;; [unrolled: 1-line block ×3, first 2 shown]
	v_add_f64_e32 v[34:35], v[26:27], v[30:31]
	v_add_f64_e64 v[36:37], v[32:33], -v[38:39]
	v_fma_f64 v[72:73], v[88:89], s[2:3], v[78:79]
	v_fma_f64 v[56:57], v[56:57], 2.0, -v[26:27]
	v_fma_f64 v[16:17], v[16:17], 2.0, -v[32:33]
	;; [unrolled: 1-line block ×4, first 2 shown]
	v_fma_f64 v[78:79], v[46:47], s[2:3], v[90:91]
	v_fma_f64 v[74:75], v[54:55], s[6:7], v[86:87]
	;; [unrolled: 1-line block ×4, first 2 shown]
	v_add_f64_e64 v[60:61], v[103:104], -v[20:21]
	v_fma_f64 v[86:87], v[22:23], 2.0, -v[105:106]
	v_fma_f64 v[88:89], v[28:29], 2.0, -v[107:108]
	v_add_f64_e64 v[58:59], v[101:102], -v[48:49]
	v_fma_f64 v[68:69], v[68:69], 2.0, -v[62:63]
	v_fma_f64 v[20:21], v[26:27], 2.0, -v[34:35]
	;; [unrolled: 1-line block ×6, first 2 shown]
	v_add_f64_e64 v[26:27], v[56:57], -v[38:39]
	v_add_f64_e64 v[24:25], v[16:17], -v[24:25]
	v_fma_f64 v[30:31], v[36:37], s[6:7], v[107:108]
	v_fma_f64 v[38:39], v[66:67], s[16:17], v[62:63]
	v_fma_f64 v[90:91], v[44:45], 2.0, -v[78:79]
	v_fma_f64 v[84:85], v[42:43], 2.0, -v[74:75]
	v_fma_f64 v[42:43], v[72:73], s[16:17], v[64:65]
	v_fma_f64 v[54:55], v[18:19], 2.0, -v[46:47]
	v_fma_f64 v[50:51], v[50:51], 2.0, -v[52:53]
	v_fma_f64 v[18:19], v[34:35], s[6:7], v[105:106]
	v_fma_f64 v[95:96], v[103:104], 2.0, -v[60:61]
	v_fma_f64 v[103:104], v[46:47], s[12:13], v[74:75]
	;; [unrolled: 2-line block ×3, first 2 shown]
	v_fma_f64 v[44:45], v[20:21], s[2:3], v[86:87]
	v_fma_f64 v[97:98], v[22:23], s[2:3], v[88:89]
	s_wait_alu 0xfffe
	v_fma_f64 v[99:100], v[32:33], s[14:15], v[68:69]
	v_fma_f64 v[101:102], v[48:49], s[14:15], v[70:71]
	v_fma_f64 v[56:57], v[56:57], 2.0, -v[26:27]
	v_fma_f64 v[111:112], v[16:17], 2.0, -v[24:25]
	v_fma_f64 v[30:31], v[34:35], s[2:3], v[30:31]
	v_add_f64_e32 v[24:25], v[58:59], v[24:25]
	v_add_f64_e64 v[26:27], v[60:61], -v[26:27]
	v_fma_f64 v[113:114], v[54:55], s[10:11], v[84:85]
	v_fma_f64 v[115:116], v[50:51], s[10:11], v[90:91]
	;; [unrolled: 1-line block ×11, first 2 shown]
	v_add_f64_e64 v[42:43], v[76:77], -v[56:57]
	v_add_f64_e64 v[44:45], v[95:96], -v[111:112]
	v_fma_f64 v[52:53], v[107:108], 2.0, -v[30:31]
	v_fma_f64 v[58:59], v[58:59], 2.0, -v[24:25]
	;; [unrolled: 1-line block ×3, first 2 shown]
	v_fma_f64 v[46:47], v[50:51], s[12:13], v[113:114]
	v_fma_f64 v[48:49], v[54:55], s[14:15], v[115:116]
	v_fma_f64 v[50:51], v[105:106], 2.0, -v[28:29]
	v_fma_f64 v[54:55], v[62:63], 2.0, -v[36:37]
	;; [unrolled: 1-line block ×13, first 2 shown]
	ds_store_b128 v40, v[28:31] offset:2240
	ds_store_b128 v40, v[36:39] offset:2400
	ds_store_b128 v40, v[50:53] offset:960
	ds_store_b128 v40, v[54:57] offset:1120
	ds_store_b128 v40, v[16:19] offset:1600
	ds_store_b128 v40, v[20:23] offset:1760
	ds_store_b128 v40, v[24:27] offset:1920
	ds_store_b128 v40, v[32:35] offset:2080
	ds_store_b128 v40, v[62:65] offset:320
	ds_store_b128 v40, v[66:69] offset:480
	ds_store_b128 v40, v[58:61] offset:640
	ds_store_b128 v40, v[70:73] offset:800
	ds_store_b128 v40, v[42:45] offset:1280
	ds_store_b128 v40, v[46:49] offset:1440
	ds_store_b128 v40, v[74:77]
	ds_store_b128 v40, v[84:87] offset:160
	global_wb scope:SCOPE_SE
	s_wait_dscnt 0x0
	s_barrier_signal -1
	s_barrier_wait -1
	global_inv scope:SCOPE_SE
	ds_load_b128 v[40:43], v93
	ds_load_b128 v[44:47], v81 offset:2560
	ds_load_b128 v[52:55], v81 offset:5120
	;; [unrolled: 1-line block ×9, first 2 shown]
	s_and_saveexec_b32 s1, s0
	s_cbranch_execz .LBB0_21
; %bb.20:
	ds_load_b128 v[16:19], v81 offset:1600
	ds_load_b128 v[20:23], v81 offset:4160
	;; [unrolled: 1-line block ×10, first 2 shown]
.LBB0_21:
	s_wait_alu 0xfffe
	s_or_b32 exec_lo, exec_lo, s1
	v_mul_u32_u24_e32 v84, 9, v80
	s_mov_b32 s6, 0x134454ff
	s_mov_b32 s7, 0xbfee6f0e
	;; [unrolled: 1-line block ×3, first 2 shown]
	s_wait_alu 0xfffe
	s_mov_b32 s2, s6
	v_lshlrev_b32_e32 v117, 4, v84
	s_mov_b32 s12, 0x4755a5e
	s_mov_b32 s13, 0xbfe2cf23
	;; [unrolled: 1-line block ×3, first 2 shown]
	s_wait_alu 0xfffe
	s_mov_b32 s10, s12
	s_clause 0x8
	global_load_b128 v[84:87], v117, s[4:5] offset:2432
	global_load_b128 v[88:91], v117, s[4:5] offset:2464
	;; [unrolled: 1-line block ×9, first 2 shown]
	s_mov_b32 s14, 0x372fe950
	s_mov_b32 s15, 0x3fd3c6ef
	;; [unrolled: 1-line block ×5, first 2 shown]
	s_wait_alu 0xfffe
	s_mov_b32 s18, s14
	s_mov_b32 s21, 0xbfe9e377
	s_mov_b32 s20, s16
	global_wb scope:SCOPE_SE
	s_wait_loadcnt_dscnt 0x0
	s_barrier_signal -1
	s_barrier_wait -1
	global_inv scope:SCOPE_SE
	v_mul_f64_e32 v[121:122], v[64:65], v[86:87]
	v_mul_f64_e32 v[123:124], v[68:69], v[90:91]
	;; [unrolled: 1-line block ×10, first 2 shown]
	v_fma_f64 v[66:67], v[66:67], v[84:85], -v[121:122]
	v_fma_f64 v[70:71], v[70:71], v[88:89], -v[123:124]
	;; [unrolled: 1-line block ×4, first 2 shown]
	v_mul_f64_e32 v[121:122], v[54:55], v[107:108]
	v_mul_f64_e32 v[107:108], v[52:53], v[107:108]
	v_mul_f64_e32 v[123:124], v[58:59], v[111:112]
	v_mul_f64_e32 v[111:112], v[56:57], v[111:112]
	v_mul_f64_e32 v[125:126], v[50:51], v[115:116]
	v_mul_f64_e32 v[127:128], v[62:63], v[119:120]
	v_mul_f64_e32 v[115:116], v[48:49], v[115:116]
	v_mul_f64_e32 v[119:120], v[60:61], v[119:120]
	v_fma_f64 v[64:65], v[64:65], v[84:85], v[86:87]
	v_fma_f64 v[68:69], v[68:69], v[88:89], v[90:91]
	;; [unrolled: 1-line block ×4, first 2 shown]
	v_fma_f64 v[46:47], v[46:47], v[101:102], -v[129:130]
	v_fma_f64 v[44:45], v[44:45], v[101:102], v[103:104]
	v_add_f64_e32 v[84:85], v[70:71], v[74:75]
	v_add_f64_e32 v[86:87], v[66:67], v[78:79]
	v_fma_f64 v[52:53], v[52:53], v[105:106], v[121:122]
	v_fma_f64 v[54:55], v[54:55], v[105:106], -v[107:108]
	v_fma_f64 v[56:57], v[56:57], v[109:110], v[123:124]
	v_fma_f64 v[58:59], v[58:59], v[109:110], -v[111:112]
	v_fma_f64 v[48:49], v[48:49], v[113:114], v[125:126]
	v_fma_f64 v[60:61], v[60:61], v[117:118], v[127:128]
	v_fma_f64 v[50:51], v[50:51], v[113:114], -v[115:116]
	v_fma_f64 v[62:63], v[62:63], v[117:118], -v[119:120]
	v_add_f64_e64 v[105:106], v[66:67], -v[78:79]
	v_add_f64_e64 v[107:108], v[66:67], -v[70:71]
	v_add_f64_e32 v[88:89], v[68:69], v[72:73]
	v_add_f64_e32 v[90:91], v[64:65], v[76:77]
	v_add_f64_e64 v[93:94], v[64:65], -v[76:77]
	v_add_f64_e64 v[95:96], v[68:69], -v[72:73]
	;; [unrolled: 1-line block ×9, first 2 shown]
	v_fma_f64 v[84:85], v[84:85], -0.5, v[46:47]
	v_fma_f64 v[86:87], v[86:87], -0.5, v[46:47]
	v_add_f64_e32 v[121:122], v[40:41], v[52:53]
	v_add_f64_e32 v[127:128], v[42:43], v[54:55]
	;; [unrolled: 1-line block ×3, first 2 shown]
	v_add_f64_e64 v[135:136], v[54:55], -v[58:59]
	v_add_f64_e32 v[97:98], v[56:57], v[48:49]
	v_add_f64_e32 v[99:100], v[52:53], v[60:61]
	;; [unrolled: 1-line block ×4, first 2 shown]
	v_add_f64_e64 v[123:124], v[54:55], -v[62:63]
	v_add_f64_e64 v[125:126], v[58:59], -v[50:51]
	v_fma_f64 v[88:89], v[88:89], -0.5, v[44:45]
	v_fma_f64 v[90:91], v[90:91], -0.5, v[44:45]
	v_add_f64_e32 v[44:45], v[44:45], v[64:65]
	v_add_f64_e64 v[64:65], v[68:69], -v[64:65]
	v_add_f64_e64 v[54:55], v[58:59], -v[54:55]
	;; [unrolled: 1-line block ×4, first 2 shown]
	v_fma_f64 v[117:118], v[93:94], s[2:3], v[84:85]
	v_fma_f64 v[119:120], v[95:96], s[6:7], v[86:87]
	v_fma_f64 v[86:87], v[95:96], s[2:3], v[86:87]
	v_fma_f64 v[84:85], v[93:94], s[6:7], v[84:85]
	v_add_f64_e32 v[58:59], v[127:128], v[58:59]
	v_add_f64_e32 v[46:47], v[46:47], v[70:71]
	v_fma_f64 v[66:67], v[97:98], -0.5, v[40:41]
	v_add_f64_e64 v[97:98], v[52:53], -v[60:61]
	v_fma_f64 v[40:41], v[99:100], -0.5, v[40:41]
	v_add_f64_e64 v[99:100], v[56:57], -v[48:49]
	v_fma_f64 v[101:102], v[101:102], -0.5, v[42:43]
	v_fma_f64 v[42:43], v[103:104], -0.5, v[42:43]
	v_add_f64_e32 v[103:104], v[107:108], v[109:110]
	v_add_f64_e32 v[107:108], v[111:112], v[113:114]
	v_fma_f64 v[109:110], v[105:106], s[6:7], v[88:89]
	v_fma_f64 v[88:89], v[105:106], s[2:3], v[88:89]
	;; [unrolled: 1-line block ×4, first 2 shown]
	v_add_f64_e32 v[44:45], v[44:45], v[68:69]
	v_add_f64_e32 v[68:69], v[129:130], v[131:132]
	;; [unrolled: 1-line block ×4, first 2 shown]
	v_fma_f64 v[113:114], v[95:96], s[10:11], v[117:118]
	v_fma_f64 v[117:118], v[93:94], s[10:11], v[119:120]
	;; [unrolled: 1-line block ×4, first 2 shown]
	v_add_f64_e64 v[93:94], v[52:53], -v[56:57]
	v_add_f64_e64 v[52:53], v[56:57], -v[52:53]
	v_add_f64_e32 v[56:57], v[121:122], v[56:57]
	v_add_f64_e64 v[95:96], v[60:61], -v[48:49]
	v_fma_f64 v[70:71], v[123:124], s[6:7], v[66:67]
	v_add_f64_e64 v[119:120], v[48:49], -v[60:61]
	v_fma_f64 v[127:128], v[97:98], s[2:3], v[101:102]
	v_fma_f64 v[101:102], v[97:98], s[6:7], v[101:102]
	;; [unrolled: 1-line block ×11, first 2 shown]
	v_add_f64_e32 v[50:51], v[58:59], v[50:51]
	v_add_f64_e32 v[44:45], v[44:45], v[72:73]
	;; [unrolled: 1-line block ×3, first 2 shown]
	v_fma_f64 v[105:106], v[103:104], s[14:15], v[113:114]
	v_fma_f64 v[113:114], v[107:108], s[14:15], v[117:118]
	;; [unrolled: 1-line block ×4, first 2 shown]
	v_add_f64_e32 v[48:49], v[56:57], v[48:49]
	v_add_f64_e32 v[93:94], v[93:94], v[95:96]
	;; [unrolled: 1-line block ×3, first 2 shown]
	v_fma_f64 v[56:57], v[125:126], s[12:13], v[70:71]
	v_fma_f64 v[70:71], v[99:100], s[10:11], v[127:128]
	;; [unrolled: 1-line block ×9, first 2 shown]
	v_add_f64_e32 v[52:53], v[52:53], v[119:120]
	v_fma_f64 v[58:59], v[125:126], s[10:11], v[66:67]
	v_fma_f64 v[66:67], v[123:124], s[12:13], v[121:122]
	v_fma_f64 v[40:41], v[123:124], s[10:11], v[40:41]
	v_add_f64_e32 v[50:51], v[50:51], v[62:63]
	v_add_f64_e32 v[44:45], v[44:45], v[76:77]
	;; [unrolled: 1-line block ×3, first 2 shown]
	v_mul_f64_e32 v[90:91], s[12:13], v[105:106]
	v_mul_f64_e32 v[105:106], s[16:17], v[105:106]
	;; [unrolled: 1-line block ×5, first 2 shown]
	s_wait_alu 0xfffe
	v_mul_f64_e32 v[86:87], s[18:19], v[86:87]
	v_mul_f64_e32 v[103:104], s[12:13], v[84:85]
	;; [unrolled: 1-line block ×3, first 2 shown]
	v_add_f64_e32 v[48:49], v[48:49], v[60:61]
	v_fma_f64 v[76:77], v[93:94], s[14:15], v[56:57]
	v_fma_f64 v[70:71], v[95:96], s[14:15], v[70:71]
	;; [unrolled: 1-line block ×8, first 2 shown]
	v_add_f64_e32 v[42:43], v[50:51], v[46:47]
	v_add_f64_e64 v[46:47], v[50:51], -v[46:47]
	v_fma_f64 v[72:73], v[97:98], s[16:17], v[90:91]
	v_fma_f64 v[97:98], v[97:98], s[10:11], v[105:106]
	;; [unrolled: 1-line block ×8, first 2 shown]
	v_add_f64_e32 v[40:41], v[48:49], v[44:45]
	v_add_f64_e64 v[44:45], v[48:49], -v[44:45]
	v_add_f64_e32 v[48:49], v[76:77], v[72:73]
	v_add_f64_e32 v[50:51], v[70:71], v[97:98]
	;; [unrolled: 1-line block ×8, first 2 shown]
	v_add_f64_e64 v[64:65], v[76:77], -v[72:73]
	v_add_f64_e64 v[68:69], v[66:67], -v[90:91]
	;; [unrolled: 1-line block ×8, first 2 shown]
	ds_store_b128 v81, v[40:43]
	ds_store_b128 v81, v[48:51] offset:2560
	ds_store_b128 v81, v[52:55] offset:5120
	;; [unrolled: 1-line block ×9, first 2 shown]
	s_and_saveexec_b32 s1, s0
	s_cbranch_execz .LBB0_23
; %bb.22:
	v_add_nc_u32_e32 v40, 0x64, v80
	v_subrev_nc_u32_e32 v41, 60, v80
	s_delay_alu instid0(VALU_DEP_1) | instskip(SKIP_1) | instid1(VALU_DEP_2)
	v_cndmask_b32_e64 v40, v41, v40, s0
	v_mov_b32_e32 v41, 0
	v_mul_i32_i24_e32 v40, 9, v40
	s_delay_alu instid0(VALU_DEP_1) | instskip(NEXT) | instid1(VALU_DEP_1)
	v_lshlrev_b64_e32 v[40:41], 4, v[40:41]
	v_add_co_u32 v72, s0, s4, v40
	s_wait_alu 0xf1ff
	s_delay_alu instid0(VALU_DEP_2)
	v_add_co_ci_u32_e64 v73, s0, s5, v41, s0
	s_clause 0x8
	global_load_b128 v[40:43], v[72:73], off offset:2464
	global_load_b128 v[44:47], v[72:73], off offset:2496
	;; [unrolled: 1-line block ×9, first 2 shown]
	s_wait_loadcnt 0x8
	v_mul_f64_e32 v[76:77], v[36:37], v[42:43]
	s_wait_loadcnt 0x7
	v_mul_f64_e32 v[78:79], v[8:9], v[46:47]
	;; [unrolled: 2-line block ×4, first 2 shown]
	v_mul_f64_e32 v[50:51], v[34:35], v[50:51]
	v_mul_f64_e32 v[42:43], v[38:39], v[42:43]
	;; [unrolled: 1-line block ×4, first 2 shown]
	s_wait_loadcnt 0x4
	v_mul_f64_e32 v[88:89], v[20:21], v[58:59]
	v_mul_f64_e32 v[58:59], v[22:23], v[58:59]
	v_fma_f64 v[38:39], v[38:39], v[40:41], -v[76:77]
	v_fma_f64 v[10:11], v[10:11], v[44:45], -v[78:79]
	;; [unrolled: 1-line block ×4, first 2 shown]
	s_wait_loadcnt 0x3
	v_mul_f64_e32 v[76:77], v[24:25], v[62:63]
	s_wait_loadcnt 0x2
	v_mul_f64_e32 v[78:79], v[28:29], v[66:67]
	;; [unrolled: 2-line block ×4, first 2 shown]
	v_mul_f64_e32 v[66:67], v[30:31], v[66:67]
	v_mul_f64_e32 v[70:71], v[2:3], v[70:71]
	v_fma_f64 v[32:33], v[32:33], v[48:49], v[50:51]
	v_fma_f64 v[36:37], v[36:37], v[40:41], v[42:43]
	;; [unrolled: 1-line block ×4, first 2 shown]
	v_fma_f64 v[22:23], v[22:23], v[56:57], -v[88:89]
	v_mul_f64_e32 v[62:63], v[26:27], v[62:63]
	v_mul_f64_e32 v[74:75], v[6:7], v[74:75]
	v_fma_f64 v[20:21], v[20:21], v[56:57], v[58:59]
	v_add_f64_e32 v[40:41], v[38:39], v[10:11]
	v_add_f64_e64 v[54:55], v[38:39], -v[10:11]
	v_add_f64_e32 v[42:43], v[34:35], v[14:15]
	v_fma_f64 v[26:27], v[26:27], v[60:61], -v[76:77]
	v_fma_f64 v[30:31], v[30:31], v[64:65], -v[78:79]
	;; [unrolled: 1-line block ×4, first 2 shown]
	v_fma_f64 v[28:29], v[28:29], v[64:65], v[66:67]
	v_fma_f64 v[0:1], v[0:1], v[68:69], v[70:71]
	v_add_f64_e64 v[56:57], v[34:35], -v[14:15]
	v_add_f64_e64 v[58:59], v[34:35], -v[38:39]
	v_add_f64_e32 v[44:45], v[36:37], v[8:9]
	v_add_f64_e64 v[46:47], v[32:33], -v[12:13]
	v_add_f64_e32 v[48:49], v[32:33], v[12:13]
	v_add_f64_e64 v[50:51], v[36:37], -v[8:9]
	v_fma_f64 v[24:25], v[24:25], v[60:61], v[62:63]
	v_fma_f64 v[4:5], v[4:5], v[72:73], v[74:75]
	v_add_f64_e64 v[60:61], v[14:15], -v[10:11]
	v_add_f64_e64 v[64:65], v[38:39], -v[34:35]
	;; [unrolled: 1-line block ×7, first 2 shown]
	v_fma_f64 v[40:41], v[40:41], -0.5, v[22:23]
	v_fma_f64 v[42:43], v[42:43], -0.5, v[22:23]
	v_add_f64_e32 v[93:94], v[18:19], v[26:27]
	v_add_f64_e32 v[22:23], v[22:23], v[34:35]
	;; [unrolled: 1-line block ×4, first 2 shown]
	v_add_f64_e64 v[95:96], v[26:27], -v[6:7]
	v_add_f64_e32 v[68:69], v[28:29], v[0:1]
	v_add_f64_e64 v[78:79], v[28:29], -v[0:1]
	v_add_f64_e64 v[34:35], v[30:31], -v[2:3]
	v_fma_f64 v[44:45], v[44:45], -0.5, v[20:21]
	v_fma_f64 v[48:49], v[48:49], -0.5, v[20:21]
	v_add_f64_e32 v[20:21], v[20:21], v[32:33]
	v_add_f64_e32 v[97:98], v[16:17], v[24:25]
	;; [unrolled: 1-line block ×3, first 2 shown]
	v_add_f64_e64 v[76:77], v[24:25], -v[4:5]
	v_add_f64_e64 v[99:100], v[0:1], -v[4:5]
	v_add_f64_e32 v[84:85], v[84:85], v[86:87]
	v_add_f64_e32 v[86:87], v[88:89], v[90:91]
	v_fma_f64 v[72:73], v[46:47], s[6:7], v[40:41]
	v_fma_f64 v[40:41], v[46:47], s[2:3], v[40:41]
	v_fma_f64 v[74:75], v[50:51], s[2:3], v[42:43]
	v_fma_f64 v[42:43], v[50:51], s[6:7], v[42:43]
	v_add_f64_e32 v[22:23], v[22:23], v[38:39]
	v_fma_f64 v[32:33], v[52:53], -0.5, v[18:19]
	v_fma_f64 v[18:19], v[62:63], -0.5, v[18:19]
	v_add_f64_e32 v[52:53], v[58:59], v[60:61]
	v_add_f64_e32 v[58:59], v[64:65], v[66:67]
	v_fma_f64 v[60:61], v[68:69], -0.5, v[16:17]
	v_fma_f64 v[62:63], v[56:57], s[2:3], v[44:45]
	v_fma_f64 v[44:45], v[56:57], s[6:7], v[44:45]
	;; [unrolled: 1-line block ×4, first 2 shown]
	v_add_f64_e32 v[20:21], v[20:21], v[36:37]
	v_fma_f64 v[16:17], v[70:71], -0.5, v[16:17]
	v_add_f64_e64 v[70:71], v[2:3], -v[6:7]
	v_fma_f64 v[66:67], v[50:51], s[12:13], v[72:73]
	v_fma_f64 v[40:41], v[50:51], s[10:11], v[40:41]
	;; [unrolled: 1-line block ×4, first 2 shown]
	v_add_f64_e64 v[46:47], v[26:27], -v[30:31]
	v_add_f64_e64 v[26:27], v[30:31], -v[26:27]
	v_add_f64_e64 v[72:73], v[24:25], -v[28:29]
	v_add_f64_e64 v[24:25], v[28:29], -v[24:25]
	v_add_f64_e32 v[30:31], v[93:94], v[30:31]
	v_add_f64_e32 v[28:29], v[97:98], v[28:29]
	v_add_f64_e64 v[50:51], v[6:7], -v[2:3]
	v_add_f64_e64 v[74:75], v[4:5], -v[0:1]
	v_fma_f64 v[36:37], v[76:77], s[6:7], v[32:33]
	v_fma_f64 v[38:39], v[78:79], s[2:3], v[18:19]
	;; [unrolled: 1-line block ×11, first 2 shown]
	v_add_f64_e32 v[10:11], v[22:23], v[10:11]
	v_add_f64_e32 v[8:9], v[20:21], v[8:9]
	v_fma_f64 v[56:57], v[52:53], s[14:15], v[66:67]
	v_fma_f64 v[40:41], v[52:53], s[14:15], v[40:41]
	;; [unrolled: 1-line block ×5, first 2 shown]
	v_add_f64_e32 v[26:27], v[26:27], v[70:71]
	v_add_f64_e32 v[24:25], v[24:25], v[99:100]
	;; [unrolled: 1-line block ×6, first 2 shown]
	v_fma_f64 v[20:21], v[78:79], s[12:13], v[36:37]
	v_fma_f64 v[22:23], v[76:77], s[12:13], v[38:39]
	;; [unrolled: 1-line block ×11, first 2 shown]
	v_add_f64_e32 v[10:11], v[10:11], v[14:15]
	v_add_f64_e32 v[8:9], v[8:9], v[12:13]
	v_mul_f64_e32 v[52:53], s[20:21], v[56:57]
	v_mul_f64_e32 v[56:57], s[12:13], v[56:57]
	;; [unrolled: 1-line block ×4, first 2 shown]
	v_fma_f64 v[34:35], v[34:35], s[12:13], v[58:59]
	v_mul_f64_e32 v[58:59], s[16:17], v[40:41]
	v_mul_f64_e32 v[40:41], s[12:13], v[40:41]
	;; [unrolled: 1-line block ×4, first 2 shown]
	v_add_f64_e32 v[6:7], v[2:3], v[6:7]
	v_add_f64_e32 v[4:5], v[0:1], v[4:5]
	v_fma_f64 v[12:13], v[46:47], s[14:15], v[20:21]
	v_fma_f64 v[20:21], v[26:27], s[14:15], v[22:23]
	;; [unrolled: 1-line block ×16, first 2 shown]
	v_add_f64_e64 v[2:3], v[6:7], -v[10:11]
	v_add_f64_e64 v[0:1], v[4:5], -v[8:9]
	v_add_f64_e32 v[6:7], v[6:7], v[10:11]
	v_add_f64_e32 v[4:5], v[4:5], v[8:9]
	v_add_f64_e64 v[10:11], v[12:13], -v[22:23]
	v_add_f64_e32 v[22:23], v[12:13], v[22:23]
	v_add_f64_e64 v[14:15], v[20:21], -v[26:27]
	v_add_f64_e64 v[18:19], v[64:65], -v[28:29]
	v_add_f64_e32 v[30:31], v[64:65], v[28:29]
	v_add_f64_e32 v[34:35], v[46:47], v[54:55]
	;; [unrolled: 1-line block ×7, first 2 shown]
	v_add_f64_e64 v[38:39], v[46:47], -v[54:55]
	v_add_f64_e64 v[36:37], v[50:51], -v[40:41]
	;; [unrolled: 1-line block ×5, first 2 shown]
	ds_store_b128 v81, v[4:7] offset:1600
	ds_store_b128 v81, v[32:35] offset:4160
	;; [unrolled: 1-line block ×10, first 2 shown]
.LBB0_23:
	s_wait_alu 0xfffe
	s_or_b32 exec_lo, exec_lo, s1
	global_wb scope:SCOPE_SE
	s_wait_dscnt 0x0
	s_barrier_signal -1
	s_barrier_wait -1
	global_inv scope:SCOPE_SE
	s_and_saveexec_b32 s0, vcc_lo
	s_cbranch_execz .LBB0_25
; %bb.24:
	v_lshl_add_u32 v34, v80, 4, v92
	v_dual_mov_b32 v81, 0 :: v_dual_add_nc_u32 v8, 0x64, v80
	v_add_co_u32 v36, vcc_lo, s8, v82
	ds_load_b128 v[0:3], v34
	ds_load_b128 v[4:7], v34 offset:1600
	v_dual_mov_b32 v9, v81 :: v_dual_add_nc_u32 v12, 0xc8, v80
	v_lshlrev_b64_e32 v[10:11], 4, v[80:81]
	s_wait_alu 0xfffd
	v_add_co_ci_u32_e32 v37, vcc_lo, s9, v83, vcc_lo
	s_delay_alu instid0(VALU_DEP_3) | instskip(SKIP_1) | instid1(VALU_DEP_4)
	v_lshlrev_b64_e32 v[8:9], 4, v[8:9]
	v_dual_mov_b32 v13, v81 :: v_dual_add_nc_u32 v14, 0x12c, v80
	v_add_co_u32 v10, vcc_lo, v36, v10
	s_wait_alu 0xfffd
	v_add_co_ci_u32_e32 v11, vcc_lo, v37, v11, vcc_lo
	s_delay_alu instid0(VALU_DEP_4)
	v_add_co_u32 v8, vcc_lo, v36, v8
	s_wait_alu 0xfffd
	v_add_co_ci_u32_e32 v9, vcc_lo, v37, v9, vcc_lo
	v_lshlrev_b64_e32 v[12:13], 4, v[12:13]
	v_mov_b32_e32 v15, v81
	v_dual_mov_b32 v23, v81 :: v_dual_add_nc_u32 v24, 0x258, v80
	s_wait_dscnt 0x1
	global_store_b128 v[10:11], v[0:3], off
	s_wait_dscnt 0x0
	global_store_b128 v[8:9], v[4:7], off
	v_dual_mov_b32 v9, v81 :: v_dual_add_nc_u32 v8, 0x190, v80
	v_add_nc_u32_e32 v22, 0x1f4, v80
	v_add_co_u32 v16, vcc_lo, v36, v12
	s_wait_alu 0xfffd
	v_add_co_ci_u32_e32 v17, vcc_lo, v37, v13, vcc_lo
	ds_load_b128 v[0:3], v34 offset:3200
	ds_load_b128 v[4:7], v34 offset:4800
	v_lshlrev_b64_e32 v[18:19], 4, v[14:15]
	v_lshlrev_b64_e32 v[20:21], 4, v[8:9]
	ds_load_b128 v[8:11], v34 offset:6400
	ds_load_b128 v[12:15], v34 offset:8000
	v_lshlrev_b64_e32 v[22:23], 4, v[22:23]
	v_mov_b32_e32 v25, v81
	v_add_co_u32 v18, vcc_lo, v36, v18
	s_wait_alu 0xfffd
	v_add_co_ci_u32_e32 v19, vcc_lo, v37, v19, vcc_lo
	v_add_co_u32 v20, vcc_lo, v36, v20
	s_wait_alu 0xfffd
	v_add_co_ci_u32_e32 v21, vcc_lo, v37, v21, vcc_lo
	;; [unrolled: 3-line block ×3, first 2 shown]
	s_wait_dscnt 0x3
	global_store_b128 v[16:17], v[0:3], off
	s_wait_dscnt 0x2
	global_store_b128 v[18:19], v[4:7], off
	;; [unrolled: 2-line block ×4, first 2 shown]
	v_add_nc_u32_e32 v8, 0x2bc, v80
	v_lshlrev_b64_e32 v[0:1], 4, v[24:25]
	v_dual_mov_b32 v9, v81 :: v_dual_add_nc_u32 v10, 0x320, v80
	v_dual_mov_b32 v11, v81 :: v_dual_add_nc_u32 v22, 0x384, v80
	;; [unrolled: 1-line block ×3, first 2 shown]
	s_delay_alu instid0(VALU_DEP_4)
	v_add_co_u32 v16, vcc_lo, v36, v0
	s_wait_alu 0xfffd
	v_add_co_ci_u32_e32 v17, vcc_lo, v37, v1, vcc_lo
	ds_load_b128 v[0:3], v34 offset:9600
	ds_load_b128 v[4:7], v34 offset:11200
	v_lshlrev_b64_e32 v[18:19], 4, v[8:9]
	v_lshlrev_b64_e32 v[20:21], 4, v[10:11]
	ds_load_b128 v[8:11], v34 offset:12800
	ds_load_b128 v[12:15], v34 offset:14400
	v_lshlrev_b64_e32 v[22:23], 4, v[22:23]
	v_add_co_u32 v18, vcc_lo, v36, v18
	s_wait_alu 0xfffd
	v_add_co_ci_u32_e32 v19, vcc_lo, v37, v19, vcc_lo
	v_add_co_u32 v20, vcc_lo, v36, v20
	s_wait_alu 0xfffd
	v_add_co_ci_u32_e32 v21, vcc_lo, v37, v21, vcc_lo
	v_add_co_u32 v22, vcc_lo, v36, v22
	s_wait_dscnt 0x3
	global_store_b128 v[16:17], v[0:3], off
	s_wait_dscnt 0x2
	global_store_b128 v[18:19], v[4:7], off
	v_dual_mov_b32 v3, v81 :: v_dual_add_nc_u32 v2, 0x44c, v80
	s_wait_alu 0xfffd
	v_add_co_ci_u32_e32 v23, vcc_lo, v37, v23, vcc_lo
	v_lshlrev_b64_e32 v[0:1], 4, v[24:25]
	s_wait_dscnt 0x1
	global_store_b128 v[20:21], v[8:11], off
	s_wait_dscnt 0x0
	global_store_b128 v[22:23], v[12:15], off
	v_lshlrev_b64_e32 v[8:9], 4, v[2:3]
	v_dual_mov_b32 v11, v81 :: v_dual_add_nc_u32 v10, 0x4b0, v80
	v_add_co_u32 v24, vcc_lo, v36, v0
	s_wait_alu 0xfffd
	v_add_co_ci_u32_e32 v25, vcc_lo, v37, v1, vcc_lo
	s_delay_alu instid0(VALU_DEP_4)
	v_add_co_u32 v26, vcc_lo, v36, v8
	s_wait_alu 0xfffd
	v_add_co_ci_u32_e32 v27, vcc_lo, v37, v9, vcc_lo
	v_lshlrev_b64_e32 v[8:9], 4, v[10:11]
	v_dual_mov_b32 v17, v81 :: v_dual_add_nc_u32 v16, 0x514, v80
	v_dual_mov_b32 v19, v81 :: v_dual_add_nc_u32 v18, 0x578, v80
	ds_load_b128 v[0:3], v34 offset:16000
	ds_load_b128 v[4:7], v34 offset:17600
	v_add_co_u32 v28, vcc_lo, v36, v8
	s_wait_alu 0xfffd
	v_add_co_ci_u32_e32 v29, vcc_lo, v37, v9, vcc_lo
	ds_load_b128 v[8:11], v34 offset:19200
	ds_load_b128 v[12:15], v34 offset:20800
	v_lshlrev_b64_e32 v[30:31], 4, v[16:17]
	v_lshlrev_b64_e32 v[32:33], 4, v[18:19]
	ds_load_b128 v[16:19], v34 offset:22400
	ds_load_b128 v[20:23], v34 offset:24000
	v_add_nc_u32_e32 v80, 0x5dc, v80
	v_add_co_u32 v30, vcc_lo, v36, v30
	s_delay_alu instid0(VALU_DEP_2)
	v_lshlrev_b64_e32 v[34:35], 4, v[80:81]
	s_wait_alu 0xfffd
	v_add_co_ci_u32_e32 v31, vcc_lo, v37, v31, vcc_lo
	v_add_co_u32 v32, vcc_lo, v36, v32
	s_wait_alu 0xfffd
	v_add_co_ci_u32_e32 v33, vcc_lo, v37, v33, vcc_lo
	v_add_co_u32 v34, vcc_lo, v36, v34
	s_wait_alu 0xfffd
	v_add_co_ci_u32_e32 v35, vcc_lo, v37, v35, vcc_lo
	s_wait_dscnt 0x5
	global_store_b128 v[24:25], v[0:3], off
	s_wait_dscnt 0x4
	global_store_b128 v[26:27], v[4:7], off
	;; [unrolled: 2-line block ×6, first 2 shown]
.LBB0_25:
	s_nop 0
	s_sendmsg sendmsg(MSG_DEALLOC_VGPRS)
	s_endpgm
	.section	.rodata,"a",@progbits
	.p2align	6, 0x0
	.amdhsa_kernel fft_rtc_back_len1600_factors_10_16_10_wgs_200_tpt_100_halfLds_dp_ip_CI_unitstride_sbrr_C2R_dirReg
		.amdhsa_group_segment_fixed_size 0
		.amdhsa_private_segment_fixed_size 0
		.amdhsa_kernarg_size 88
		.amdhsa_user_sgpr_count 2
		.amdhsa_user_sgpr_dispatch_ptr 0
		.amdhsa_user_sgpr_queue_ptr 0
		.amdhsa_user_sgpr_kernarg_segment_ptr 1
		.amdhsa_user_sgpr_dispatch_id 0
		.amdhsa_user_sgpr_private_segment_size 0
		.amdhsa_wavefront_size32 1
		.amdhsa_uses_dynamic_stack 0
		.amdhsa_enable_private_segment 0
		.amdhsa_system_sgpr_workgroup_id_x 1
		.amdhsa_system_sgpr_workgroup_id_y 0
		.amdhsa_system_sgpr_workgroup_id_z 0
		.amdhsa_system_sgpr_workgroup_info 0
		.amdhsa_system_vgpr_workitem_id 0
		.amdhsa_next_free_vgpr 168
		.amdhsa_next_free_sgpr 32
		.amdhsa_reserve_vcc 1
		.amdhsa_float_round_mode_32 0
		.amdhsa_float_round_mode_16_64 0
		.amdhsa_float_denorm_mode_32 3
		.amdhsa_float_denorm_mode_16_64 3
		.amdhsa_fp16_overflow 0
		.amdhsa_workgroup_processor_mode 1
		.amdhsa_memory_ordered 1
		.amdhsa_forward_progress 0
		.amdhsa_round_robin_scheduling 0
		.amdhsa_exception_fp_ieee_invalid_op 0
		.amdhsa_exception_fp_denorm_src 0
		.amdhsa_exception_fp_ieee_div_zero 0
		.amdhsa_exception_fp_ieee_overflow 0
		.amdhsa_exception_fp_ieee_underflow 0
		.amdhsa_exception_fp_ieee_inexact 0
		.amdhsa_exception_int_div_zero 0
	.end_amdhsa_kernel
	.text
.Lfunc_end0:
	.size	fft_rtc_back_len1600_factors_10_16_10_wgs_200_tpt_100_halfLds_dp_ip_CI_unitstride_sbrr_C2R_dirReg, .Lfunc_end0-fft_rtc_back_len1600_factors_10_16_10_wgs_200_tpt_100_halfLds_dp_ip_CI_unitstride_sbrr_C2R_dirReg
                                        ; -- End function
	.section	.AMDGPU.csdata,"",@progbits
; Kernel info:
; codeLenInByte = 12384
; NumSgprs: 34
; NumVgprs: 168
; ScratchSize: 0
; MemoryBound: 0
; FloatMode: 240
; IeeeMode: 1
; LDSByteSize: 0 bytes/workgroup (compile time only)
; SGPRBlocks: 4
; VGPRBlocks: 20
; NumSGPRsForWavesPerEU: 34
; NumVGPRsForWavesPerEU: 168
; Occupancy: 9
; WaveLimiterHint : 1
; COMPUTE_PGM_RSRC2:SCRATCH_EN: 0
; COMPUTE_PGM_RSRC2:USER_SGPR: 2
; COMPUTE_PGM_RSRC2:TRAP_HANDLER: 0
; COMPUTE_PGM_RSRC2:TGID_X_EN: 1
; COMPUTE_PGM_RSRC2:TGID_Y_EN: 0
; COMPUTE_PGM_RSRC2:TGID_Z_EN: 0
; COMPUTE_PGM_RSRC2:TIDIG_COMP_CNT: 0
	.text
	.p2alignl 7, 3214868480
	.fill 96, 4, 3214868480
	.type	__hip_cuid_900c8caa35e6c644,@object ; @__hip_cuid_900c8caa35e6c644
	.section	.bss,"aw",@nobits
	.globl	__hip_cuid_900c8caa35e6c644
__hip_cuid_900c8caa35e6c644:
	.byte	0                               ; 0x0
	.size	__hip_cuid_900c8caa35e6c644, 1

	.ident	"AMD clang version 19.0.0git (https://github.com/RadeonOpenCompute/llvm-project roc-6.4.0 25133 c7fe45cf4b819c5991fe208aaa96edf142730f1d)"
	.section	".note.GNU-stack","",@progbits
	.addrsig
	.addrsig_sym __hip_cuid_900c8caa35e6c644
	.amdgpu_metadata
---
amdhsa.kernels:
  - .args:
      - .actual_access:  read_only
        .address_space:  global
        .offset:         0
        .size:           8
        .value_kind:     global_buffer
      - .offset:         8
        .size:           8
        .value_kind:     by_value
      - .actual_access:  read_only
        .address_space:  global
        .offset:         16
        .size:           8
        .value_kind:     global_buffer
      - .actual_access:  read_only
        .address_space:  global
        .offset:         24
        .size:           8
        .value_kind:     global_buffer
      - .offset:         32
        .size:           8
        .value_kind:     by_value
      - .actual_access:  read_only
        .address_space:  global
        .offset:         40
        .size:           8
        .value_kind:     global_buffer
      - .actual_access:  read_only
        .address_space:  global
        .offset:         48
        .size:           8
        .value_kind:     global_buffer
      - .offset:         56
        .size:           4
        .value_kind:     by_value
      - .actual_access:  read_only
        .address_space:  global
        .offset:         64
        .size:           8
        .value_kind:     global_buffer
      - .actual_access:  read_only
        .address_space:  global
        .offset:         72
        .size:           8
        .value_kind:     global_buffer
      - .address_space:  global
        .offset:         80
        .size:           8
        .value_kind:     global_buffer
    .group_segment_fixed_size: 0
    .kernarg_segment_align: 8
    .kernarg_segment_size: 88
    .language:       OpenCL C
    .language_version:
      - 2
      - 0
    .max_flat_workgroup_size: 200
    .name:           fft_rtc_back_len1600_factors_10_16_10_wgs_200_tpt_100_halfLds_dp_ip_CI_unitstride_sbrr_C2R_dirReg
    .private_segment_fixed_size: 0
    .sgpr_count:     34
    .sgpr_spill_count: 0
    .symbol:         fft_rtc_back_len1600_factors_10_16_10_wgs_200_tpt_100_halfLds_dp_ip_CI_unitstride_sbrr_C2R_dirReg.kd
    .uniform_work_group_size: 1
    .uses_dynamic_stack: false
    .vgpr_count:     168
    .vgpr_spill_count: 0
    .wavefront_size: 32
    .workgroup_processor_mode: 1
amdhsa.target:   amdgcn-amd-amdhsa--gfx1201
amdhsa.version:
  - 1
  - 2
...

	.end_amdgpu_metadata
